;; amdgpu-corpus repo=pytorch/pytorch kind=compiled arch=gfx906 opt=O3
	.amdgcn_target "amdgcn-amd-amdhsa--gfx906"
	.amdhsa_code_object_version 6
	.section	.text._ZN2at6native12_GLOBAL__N_125multi_tensor_apply_kernelINS1_18TensorListMetadataILi4EEENS1_20TernaryOpListFunctorIdLi4ELi3ELi3EEEJNS0_11LerpFunctorIdEEEEEvT_T0_DpT1_,"axG",@progbits,_ZN2at6native12_GLOBAL__N_125multi_tensor_apply_kernelINS1_18TensorListMetadataILi4EEENS1_20TernaryOpListFunctorIdLi4ELi3ELi3EEEJNS0_11LerpFunctorIdEEEEEvT_T0_DpT1_,comdat
	.globl	_ZN2at6native12_GLOBAL__N_125multi_tensor_apply_kernelINS1_18TensorListMetadataILi4EEENS1_20TernaryOpListFunctorIdLi4ELi3ELi3EEEJNS0_11LerpFunctorIdEEEEEvT_T0_DpT1_ ; -- Begin function _ZN2at6native12_GLOBAL__N_125multi_tensor_apply_kernelINS1_18TensorListMetadataILi4EEENS1_20TernaryOpListFunctorIdLi4ELi3ELi3EEEJNS0_11LerpFunctorIdEEEEEvT_T0_DpT1_
	.p2align	8
	.type	_ZN2at6native12_GLOBAL__N_125multi_tensor_apply_kernelINS1_18TensorListMetadataILi4EEENS1_20TernaryOpListFunctorIdLi4ELi3ELi3EEEJNS0_11LerpFunctorIdEEEEEvT_T0_DpT1_,@function
_ZN2at6native12_GLOBAL__N_125multi_tensor_apply_kernelINS1_18TensorListMetadataILi4EEENS1_20TernaryOpListFunctorIdLi4ELi3ELi3EEEJNS0_11LerpFunctorIdEEEEEvT_T0_DpT1_: ; @_ZN2at6native12_GLOBAL__N_125multi_tensor_apply_kernelINS1_18TensorListMetadataILi4EEENS1_20TernaryOpListFunctorIdLi4ELi3ELi3EEEJNS0_11LerpFunctorIdEEEEEvT_T0_DpT1_
; %bb.0:
	v_mov_b32_e32 v1, s6
	global_load_ubyte v1, v1, s[4:5] offset:1440
	s_add_u32 s0, s4, s6
	s_mul_hi_u32 s1, s6, 3
	s_mul_i32 s6, s6, 3
	s_addc_u32 s2, s5, 0
	s_add_u32 s0, s0, s6
	s_addc_u32 s1, s2, s1
	s_load_dword s16, s[0:1], 0x6e0
	s_mov_b32 s11, 0
	s_mov_b32 s13, s11
	;; [unrolled: 1-line block ×3, first 2 shown]
	s_waitcnt lgkmcnt(0)
	s_ashr_i32 s17, s16, 31
	s_waitcnt vmcnt(0)
	v_readfirstlane_b32 s0, v1
	s_lshl_b32 s8, s0, 3
	s_load_dwordx2 s[20:21], s[4:5], s8 offset:0x480
	s_load_dwordx2 s[14:15], s[4:5], s8 offset:0x0
	;; [unrolled: 1-line block ×5, first 2 shown]
	s_lshl_b64 s[8:9], s[16:17], 19
	s_waitcnt lgkmcnt(0)
	s_add_u32 s22, s14, s8
	s_addc_u32 s23, s15, s9
	s_and_b32 s10, s22, 31
	s_add_u32 s24, s6, s8
	s_addc_u32 s25, s7, s9
	s_and_b32 s12, s24, 31
	s_cmp_lg_u64 s[12:13], 0
	s_cselect_b64 s[12:13], -1, 0
	s_add_u32 s26, s2, s8
	s_addc_u32 s27, s3, s9
	s_add_u32 s28, s0, s8
	s_addc_u32 s29, s1, s9
	s_or_b32 s18, s28, s26
	s_and_b32 s18, s18, 31
	s_cmp_lg_u32 s18, 0
	s_cselect_b64 s[30:31], -1, 0
	s_lshl_b64 s[16:17], s[16:17], 16
	s_or_b64 s[30:31], s[30:31], s[12:13]
	s_sub_u32 s12, s20, s16
	s_subb_u32 s13, s21, s17
	s_and_b32 s18, s20, 3
	s_or_b64 s[10:11], s[10:11], s[18:19]
	s_cmp_lg_u64 s[10:11], 0
	s_cselect_b64 s[10:11], -1, 0
	s_or_b64 s[10:11], s[30:31], s[10:11]
	s_andn2_b64 vcc, exec, s[10:11]
	s_mov_b64 s[10:11], -1
	s_cbranch_vccz .LBB0_21
; %bb.1:
	v_mov_b32_e32 v1, 0x10000
	v_mov_b32_e32 v2, 0
	v_cmp_lt_i64_e32 vcc, s[12:13], v[1:2]
	v_mov_b32_e32 v2, 0
	s_and_b64 s[10:11], vcc, exec
	s_cselect_b32 s11, s13, 0
	s_cselect_b32 s10, s12, 0x10000
	v_lshlrev_b32_e32 v1, 2, v0
	v_cmp_gt_i64_e32 vcc, s[10:11], v[1:2]
	s_and_saveexec_b64 s[16:17], vcc
	s_cbranch_execz .LBB0_20
; %bb.2:
	s_load_dword s20, s[4:5], 0xbfc
	v_mov_b32_e32 v1, v2
	v_mov_b32_e32 v30, v1
	v_lshlrev_b32_e32 v31, 5, v0
	s_mov_b64 s[18:19], 0
	s_waitcnt lgkmcnt(0)
	s_and_b32 s30, s20, 0xffff
	s_lshl_b32 s31, s30, 5
	v_mov_b32_e32 v29, v0
	s_branch .LBB0_4
.LBB0_3:                                ;   in Loop: Header=BB0_4 Depth=1
	s_or_b64 exec, exec, s[20:21]
	v_mov_b32_e32 v6, s29
	v_add_co_u32_e32 v5, vcc, s28, v31
	s_add_u32 s28, s28, s31
	v_addc_co_u32_e32 v6, vcc, 0, v6, vcc
	s_addc_u32 s29, s29, 0
	v_add_co_u32_e32 v29, vcc, s30, v29
	s_add_u32 s22, s22, s31
	v_addc_co_u32_e32 v30, vcc, 0, v30, vcc
	s_addc_u32 s23, s23, 0
	global_store_dwordx4 v[5:6], v[1:4], off
	s_add_u32 s26, s26, s31
	v_lshlrev_b64 v[1:2], 2, v[29:30]
	s_addc_u32 s27, s27, 0
	s_add_u32 s24, s24, s31
	v_cmp_le_i64_e32 vcc, s[10:11], v[1:2]
	s_addc_u32 s25, s25, 0
	s_or_b64 s[18:19], vcc, s[18:19]
	global_store_dwordx4 v[5:6], v[17:20], off offset:16
	s_andn2_b64 exec, exec, s[18:19]
	s_cbranch_execz .LBB0_20
.LBB0_4:                                ; =>This Inner Loop Header: Depth=1
	v_mov_b32_e32 v2, s23
	v_add_co_u32_e32 v1, vcc, s22, v31
	v_addc_co_u32_e32 v2, vcc, 0, v2, vcc
	v_mov_b32_e32 v4, s25
	v_add_co_u32_e32 v3, vcc, s24, v31
	v_addc_co_u32_e32 v4, vcc, 0, v4, vcc
	global_load_dwordx4 v[21:24], v[3:4], off
	v_mov_b32_e32 v5, s27
	v_add_co_u32_e32 v32, vcc, s26, v31
	v_addc_co_u32_e32 v33, vcc, 0, v5, vcc
	global_load_dwordx4 v[17:20], v[32:33], off
	global_load_dwordx4 v[25:28], v[1:2], off
	global_load_dwordx4 v[9:12], v[1:2], off offset:16
	global_load_dwordx4 v[13:16], v[3:4], off offset:16
	;; [unrolled: 1-line block ×3, first 2 shown]
                                        ; implicit-def: $vgpr1_vgpr2
	s_waitcnt vmcnt(4)
	v_cmp_nlt_f64_e64 s[20:21], |v[17:18]|, 0.5
	s_waitcnt vmcnt(3)
	v_add_f64 v[3:4], v[21:22], -v[25:26]
	s_and_saveexec_b64 s[34:35], s[20:21]
	s_xor_b64 s[20:21], exec, s[34:35]
	s_cbranch_execz .LBB0_6
; %bb.5:                                ;   in Loop: Header=BB0_4 Depth=1
	v_add_f64 v[1:2], -v[17:18], 1.0
	v_fma_f64 v[1:2], -v[3:4], v[1:2], v[21:22]
                                        ; implicit-def: $vgpr3_vgpr4
.LBB0_6:                                ;   in Loop: Header=BB0_4 Depth=1
	s_andn2_saveexec_b64 s[20:21], s[20:21]
; %bb.7:                                ;   in Loop: Header=BB0_4 Depth=1
	v_fma_f64 v[1:2], v[3:4], v[17:18], v[25:26]
; %bb.8:                                ;   in Loop: Header=BB0_4 Depth=1
	s_or_b64 exec, exec, s[20:21]
	v_cmp_nlt_f64_e64 s[20:21], |v[19:20]|, 0.5
	v_add_f64 v[17:18], v[23:24], -v[27:28]
	s_and_saveexec_b64 s[34:35], s[20:21]
	s_xor_b64 s[20:21], exec, s[34:35]
	s_cbranch_execz .LBB0_10
; %bb.9:                                ;   in Loop: Header=BB0_4 Depth=1
	v_add_f64 v[3:4], -v[19:20], 1.0
                                        ; implicit-def: $vgpr19_vgpr20
                                        ; implicit-def: $vgpr27_vgpr28
	v_fma_f64 v[3:4], -v[17:18], v[3:4], v[23:24]
                                        ; implicit-def: $vgpr17_vgpr18
.LBB0_10:                               ;   in Loop: Header=BB0_4 Depth=1
	s_andn2_saveexec_b64 s[20:21], s[20:21]
; %bb.11:                               ;   in Loop: Header=BB0_4 Depth=1
	v_fma_f64 v[3:4], v[17:18], v[19:20], v[27:28]
; %bb.12:                               ;   in Loop: Header=BB0_4 Depth=1
	s_or_b64 exec, exec, s[20:21]
	s_waitcnt vmcnt(0)
	v_cmp_nlt_f64_e64 s[20:21], |v[5:6]|, 0.5
	v_add_f64 v[19:20], v[13:14], -v[9:10]
                                        ; implicit-def: $vgpr17_vgpr18
	s_and_saveexec_b64 s[34:35], s[20:21]
	s_xor_b64 s[20:21], exec, s[34:35]
	s_cbranch_execz .LBB0_14
; %bb.13:                               ;   in Loop: Header=BB0_4 Depth=1
	v_add_f64 v[17:18], -v[5:6], 1.0
	v_fma_f64 v[17:18], -v[19:20], v[17:18], v[13:14]
                                        ; implicit-def: $vgpr19_vgpr20
.LBB0_14:                               ;   in Loop: Header=BB0_4 Depth=1
	s_andn2_saveexec_b64 s[20:21], s[20:21]
; %bb.15:                               ;   in Loop: Header=BB0_4 Depth=1
	v_fma_f64 v[17:18], v[19:20], v[5:6], v[9:10]
; %bb.16:                               ;   in Loop: Header=BB0_4 Depth=1
	s_or_b64 exec, exec, s[20:21]
	v_cmp_nlt_f64_e64 s[20:21], |v[7:8]|, 0.5
	v_add_f64 v[5:6], v[15:16], -v[11:12]
	s_and_saveexec_b64 s[34:35], s[20:21]
	s_xor_b64 s[20:21], exec, s[34:35]
	s_cbranch_execz .LBB0_18
; %bb.17:                               ;   in Loop: Header=BB0_4 Depth=1
	v_add_f64 v[7:8], -v[7:8], 1.0
                                        ; implicit-def: $vgpr11_vgpr12
	v_fma_f64 v[19:20], -v[5:6], v[7:8], v[15:16]
                                        ; implicit-def: $vgpr5_vgpr6
                                        ; implicit-def: $vgpr7_vgpr8
.LBB0_18:                               ;   in Loop: Header=BB0_4 Depth=1
	s_andn2_saveexec_b64 s[20:21], s[20:21]
	s_cbranch_execz .LBB0_3
; %bb.19:                               ;   in Loop: Header=BB0_4 Depth=1
	v_fma_f64 v[19:20], v[5:6], v[7:8], v[11:12]
	s_branch .LBB0_3
.LBB0_20:
	s_or_b64 exec, exec, s[16:17]
	s_mov_b64 s[10:11], 0
.LBB0_21:
	s_andn2_b64 vcc, exec, s[10:11]
	s_cbranch_vccnz .LBB0_65
; %bb.22:
	v_cmp_lt_i64_e64 s[10:11], s[12:13], 1
	s_and_b64 vcc, exec, s[10:11]
	s_cbranch_vccnz .LBB0_65
; %bb.23:
	v_mov_b32_e32 v1, 0x10000
	s_load_dword s16, s[4:5], 0xbfc
	v_mov_b32_e32 v2, 0
	v_cmp_lt_i64_e32 vcc, s[12:13], v[1:2]
	v_mov_b32_e32 v3, 0
	s_and_b64 s[4:5], vcc, exec
	s_cselect_b32 s11, s13, 0
	s_cselect_b32 s10, s12, 0x10000
	v_cmp_lt_u64_e32 vcc, s[12:13], v[1:2]
	s_waitcnt lgkmcnt(0)
	s_and_b32 s16, s16, 0xffff
	v_lshlrev_b32_e32 v2, 3, v0
	v_mad_u64_u32 v[3:4], s[4:5], s16, 24, v[2:3]
	s_and_b64 s[4:5], vcc, exec
	v_mov_b32_e32 v7, s15
	v_add_co_u32_e32 v29, vcc, s14, v3
	v_addc_co_u32_e32 v30, vcc, v7, v4, vcc
	v_mov_b32_e32 v7, s7
	v_add_co_u32_e32 v31, vcc, s6, v3
	v_addc_co_u32_e32 v32, vcc, v7, v4, vcc
	;; [unrolled: 3-line block ×3, first 2 shown]
	v_mov_b32_e32 v7, s1
	v_add_co_u32_e32 v35, vcc, s0, v3
	s_cselect_b32 s13, s13, 0
	s_cselect_b32 s12, s12, 0x10000
	v_addc_co_u32_e32 v36, vcc, v7, v4, vcc
	s_lshl_b32 s4, s16, 4
	v_add_co_u32_e32 v4, vcc, s4, v2
	v_addc_co_u32_e64 v7, s[4:5], 0, 0, vcc
	v_mov_b32_e32 v8, s15
	v_add_co_u32_e32 v37, vcc, s14, v4
	v_addc_co_u32_e32 v38, vcc, v8, v7, vcc
	v_mov_b32_e32 v8, s7
	v_add_co_u32_e32 v39, vcc, s6, v4
	v_addc_co_u32_e32 v40, vcc, v8, v7, vcc
	;; [unrolled: 3-line block ×8, first 2 shown]
	v_add_co_u32_e32 v53, vcc, s16, v0
	v_lshlrev_b32_e32 v1, 3, v53
	v_addc_co_u32_e64 v54, s[4:5], 0, 0, vcc
	v_mov_b32_e32 v2, s15
	v_add_co_u32_e32 v55, vcc, s14, v1
	v_addc_co_u32_e32 v56, vcc, 0, v2, vcc
	v_mov_b32_e32 v2, s7
	v_add_co_u32_e32 v57, vcc, s6, v1
	v_addc_co_u32_e32 v58, vcc, 0, v2, vcc
	;; [unrolled: 3-line block ×3, first 2 shown]
	v_mov_b32_e32 v2, s1
	v_add_co_u32_e32 v61, vcc, s0, v1
	s_mul_i32 s20, s16, 3
	v_addc_co_u32_e32 v62, vcc, 0, v2, vcc
	s_lshl_b32 s17, s16, 1
	v_add_co_u32_e32 v63, vcc, s20, v0
	v_addc_co_u32_e64 v64, s[0:1], 0, 0, vcc
	v_add_co_u32_e32 v65, vcc, s17, v0
	s_lshl_b32 s18, s16, 2
	s_lshl_b32 s19, s16, 5
	s_mov_b64 s[14:15], 0
	v_addc_co_u32_e64 v66, s[0:1], 0, 0, vcc
	s_branch .LBB0_25
.LBB0_24:                               ;   in Loop: Header=BB0_25 Depth=1
	s_or_b64 exec, exec, s[0:1]
	v_add_co_u32_e32 v45, vcc, s19, v45
	v_addc_co_u32_e32 v46, vcc, 0, v46, vcc
	v_add_co_u32_e32 v47, vcc, s19, v47
	v_addc_co_u32_e32 v48, vcc, 0, v48, vcc
	v_add_co_u32_e32 v49, vcc, s19, v49
	v_addc_co_u32_e32 v50, vcc, 0, v50, vcc
	v_add_co_u32_e32 v51, vcc, s19, v51
	v_addc_co_u32_e32 v52, vcc, 0, v52, vcc
	v_add_co_u32_e32 v29, vcc, s19, v29
	v_addc_co_u32_e32 v30, vcc, 0, v30, vcc
	v_add_co_u32_e32 v31, vcc, s19, v31
	v_addc_co_u32_e32 v32, vcc, 0, v32, vcc
	v_add_co_u32_e32 v33, vcc, s19, v33
	v_addc_co_u32_e32 v34, vcc, 0, v34, vcc
	v_add_co_u32_e32 v35, vcc, s19, v35
	v_addc_co_u32_e32 v36, vcc, 0, v36, vcc
	v_add_co_u32_e32 v37, vcc, s19, v37
	v_addc_co_u32_e32 v38, vcc, 0, v38, vcc
	v_add_co_u32_e32 v39, vcc, s19, v39
	v_addc_co_u32_e32 v40, vcc, 0, v40, vcc
	v_add_co_u32_e32 v41, vcc, s19, v41
	v_addc_co_u32_e32 v42, vcc, 0, v42, vcc
	v_add_co_u32_e32 v43, vcc, s19, v43
	v_addc_co_u32_e32 v44, vcc, 0, v44, vcc
	v_add_co_u32_e32 v55, vcc, s19, v55
	v_addc_co_u32_e32 v56, vcc, 0, v56, vcc
	v_add_co_u32_e32 v57, vcc, s19, v57
	v_addc_co_u32_e32 v58, vcc, 0, v58, vcc
	s_add_u32 s14, s14, s18
	v_add_co_u32_e32 v59, vcc, s19, v59
	v_mov_b32_e32 v1, s10
	s_addc_u32 s15, s15, 0
	v_addc_co_u32_e32 v60, vcc, 0, v60, vcc
	v_mov_b32_e32 v2, s11
	v_cmp_ge_i64_e32 vcc, s[14:15], v[1:2]
	v_add_co_u32_e64 v61, s[0:1], s19, v61
	v_addc_co_u32_e64 v62, s[0:1], 0, v62, s[0:1]
	s_cbranch_vccnz .LBB0_65
.LBB0_25:                               ; =>This Inner Loop Header: Depth=1
	v_mov_b32_e32 v2, s15
	v_add_co_u32_e32 v1, vcc, s14, v0
	v_addc_co_u32_e32 v2, vcc, 0, v2, vcc
	v_cmp_gt_u64_e32 vcc, s[12:13], v[1:2]
	v_mov_b32_e32 v1, 0
	v_mov_b32_e32 v7, 0
	;; [unrolled: 1-line block ×6, first 2 shown]
	s_and_saveexec_b64 s[2:3], vcc
	s_cbranch_execz .LBB0_27
; %bb.26:                               ;   in Loop: Header=BB0_25 Depth=1
	v_mov_b32_e32 v3, s9
	v_add_co_u32_e64 v5, s[0:1], s8, v47
	v_addc_co_u32_e64 v6, s[0:1], v48, v3, s[0:1]
	v_add_co_u32_e64 v9, s[0:1], s8, v45
	v_addc_co_u32_e64 v10, s[0:1], v46, v3, s[0:1]
	global_load_dwordx2 v[3:4], v[9:10], off
	global_load_dwordx2 v[7:8], v[5:6], off
.LBB0_27:                               ;   in Loop: Header=BB0_25 Depth=1
	s_or_b64 exec, exec, s[2:3]
	s_and_saveexec_b64 s[2:3], vcc
	s_cbranch_execz .LBB0_29
; %bb.28:                               ;   in Loop: Header=BB0_25 Depth=1
	v_mov_b32_e32 v2, s9
	v_add_co_u32_e64 v1, s[0:1], s8, v49
	v_addc_co_u32_e64 v2, s[0:1], v50, v2, s[0:1]
	global_load_dwordx2 v[1:2], v[1:2], off
.LBB0_29:                               ;   in Loop: Header=BB0_25 Depth=1
	s_or_b64 exec, exec, s[2:3]
	v_mov_b32_e32 v6, s15
	v_add_co_u32_e64 v5, s[0:1], s14, v53
	v_addc_co_u32_e64 v6, s[0:1], v54, v6, s[0:1]
	v_cmp_gt_u64_e64 s[0:1], s[12:13], v[5:6]
	v_mov_b32_e32 v5, 0
	v_mov_b32_e32 v13, 0
	;; [unrolled: 1-line block ×6, first 2 shown]
	s_and_saveexec_b64 s[4:5], s[0:1]
	s_cbranch_execz .LBB0_31
; %bb.30:                               ;   in Loop: Header=BB0_25 Depth=1
	v_mov_b32_e32 v9, s9
	v_add_co_u32_e64 v11, s[2:3], s8, v57
	v_addc_co_u32_e64 v12, s[2:3], v58, v9, s[2:3]
	v_add_co_u32_e64 v15, s[2:3], s8, v55
	v_addc_co_u32_e64 v16, s[2:3], v56, v9, s[2:3]
	global_load_dwordx2 v[9:10], v[15:16], off
	global_load_dwordx2 v[13:14], v[11:12], off
.LBB0_31:                               ;   in Loop: Header=BB0_25 Depth=1
	s_or_b64 exec, exec, s[4:5]
	s_and_saveexec_b64 s[4:5], s[0:1]
	s_cbranch_execz .LBB0_33
; %bb.32:                               ;   in Loop: Header=BB0_25 Depth=1
	v_mov_b32_e32 v6, s9
	v_add_co_u32_e64 v5, s[2:3], s8, v59
	v_addc_co_u32_e64 v6, s[2:3], v60, v6, s[2:3]
	global_load_dwordx2 v[5:6], v[5:6], off
.LBB0_33:                               ;   in Loop: Header=BB0_25 Depth=1
	s_or_b64 exec, exec, s[4:5]
	v_mov_b32_e32 v12, s15
	v_add_co_u32_e64 v11, s[2:3], s14, v65
	v_addc_co_u32_e64 v12, s[2:3], v66, v12, s[2:3]
	v_cmp_gt_u64_e64 s[2:3], s[12:13], v[11:12]
	v_mov_b32_e32 v11, 0
	v_mov_b32_e32 v19, 0
	;; [unrolled: 1-line block ×6, first 2 shown]
	s_and_saveexec_b64 s[6:7], s[2:3]
	s_cbranch_execz .LBB0_35
; %bb.34:                               ;   in Loop: Header=BB0_25 Depth=1
	v_mov_b32_e32 v15, s9
	v_add_co_u32_e64 v17, s[4:5], s8, v39
	v_addc_co_u32_e64 v18, s[4:5], v40, v15, s[4:5]
	v_add_co_u32_e64 v21, s[4:5], s8, v37
	v_addc_co_u32_e64 v22, s[4:5], v38, v15, s[4:5]
	global_load_dwordx2 v[15:16], v[21:22], off
	global_load_dwordx2 v[19:20], v[17:18], off
.LBB0_35:                               ;   in Loop: Header=BB0_25 Depth=1
	s_or_b64 exec, exec, s[6:7]
	s_and_saveexec_b64 s[6:7], s[2:3]
	s_cbranch_execz .LBB0_37
; %bb.36:                               ;   in Loop: Header=BB0_25 Depth=1
	v_mov_b32_e32 v12, s9
	v_add_co_u32_e64 v11, s[4:5], s8, v41
	v_addc_co_u32_e64 v12, s[4:5], v42, v12, s[4:5]
	global_load_dwordx2 v[11:12], v[11:12], off
.LBB0_37:                               ;   in Loop: Header=BB0_25 Depth=1
	s_or_b64 exec, exec, s[6:7]
	v_mov_b32_e32 v18, s15
	v_add_co_u32_e64 v17, s[4:5], s14, v63
	v_addc_co_u32_e64 v18, s[4:5], v64, v18, s[4:5]
	v_cmp_gt_u64_e64 s[4:5], s[12:13], v[17:18]
	v_mov_b32_e32 v17, 0
	v_mov_b32_e32 v23, 0
	v_mov_b32_e32 v21, 0
	v_mov_b32_e32 v18, 0
	v_mov_b32_e32 v24, 0
	v_mov_b32_e32 v22, 0
	s_and_saveexec_b64 s[16:17], s[4:5]
	s_cbranch_execz .LBB0_39
; %bb.38:                               ;   in Loop: Header=BB0_25 Depth=1
	v_mov_b32_e32 v22, s9
	v_add_co_u32_e64 v23, s[6:7], s8, v31
	v_addc_co_u32_e64 v24, s[6:7], v32, v22, s[6:7]
	v_add_co_u32_e64 v21, s[6:7], s8, v29
	v_addc_co_u32_e64 v22, s[6:7], v30, v22, s[6:7]
	global_load_dwordx2 v[21:22], v[21:22], off
	s_nop 0
	global_load_dwordx2 v[23:24], v[23:24], off
.LBB0_39:                               ;   in Loop: Header=BB0_25 Depth=1
	s_or_b64 exec, exec, s[16:17]
	s_and_saveexec_b64 s[16:17], s[4:5]
	s_cbranch_execz .LBB0_41
; %bb.40:                               ;   in Loop: Header=BB0_25 Depth=1
	v_mov_b32_e32 v18, s9
	v_add_co_u32_e64 v17, s[6:7], s8, v33
	v_addc_co_u32_e64 v18, s[6:7], v34, v18, s[6:7]
	global_load_dwordx2 v[17:18], v[17:18], off
.LBB0_41:                               ;   in Loop: Header=BB0_25 Depth=1
	s_or_b64 exec, exec, s[16:17]
	s_waitcnt vmcnt(0)
	v_cmp_nlt_f64_e64 s[6:7], |v[1:2]|, 0.5
	v_add_f64 v[27:28], v[7:8], -v[3:4]
                                        ; implicit-def: $vgpr25_vgpr26
	s_and_saveexec_b64 s[16:17], s[6:7]
	s_xor_b64 s[6:7], exec, s[16:17]
	s_cbranch_execz .LBB0_43
; %bb.42:                               ;   in Loop: Header=BB0_25 Depth=1
	v_add_f64 v[1:2], -v[1:2], 1.0
                                        ; implicit-def: $vgpr3_vgpr4
	v_fma_f64 v[25:26], -v[27:28], v[1:2], v[7:8]
                                        ; implicit-def: $vgpr27_vgpr28
                                        ; implicit-def: $vgpr1_vgpr2
.LBB0_43:                               ;   in Loop: Header=BB0_25 Depth=1
	s_andn2_saveexec_b64 s[6:7], s[6:7]
; %bb.44:                               ;   in Loop: Header=BB0_25 Depth=1
	v_fma_f64 v[25:26], v[27:28], v[1:2], v[3:4]
; %bb.45:                               ;   in Loop: Header=BB0_25 Depth=1
	s_or_b64 exec, exec, s[6:7]
	v_cmp_nlt_f64_e64 s[6:7], |v[5:6]|, 0.5
	v_add_f64 v[3:4], v[13:14], -v[9:10]
                                        ; implicit-def: $vgpr1_vgpr2
	s_and_saveexec_b64 s[16:17], s[6:7]
	s_xor_b64 s[6:7], exec, s[16:17]
	s_cbranch_execz .LBB0_47
; %bb.46:                               ;   in Loop: Header=BB0_25 Depth=1
	v_add_f64 v[1:2], -v[5:6], 1.0
                                        ; implicit-def: $vgpr5_vgpr6
                                        ; implicit-def: $vgpr9_vgpr10
	v_fma_f64 v[1:2], -v[3:4], v[1:2], v[13:14]
                                        ; implicit-def: $vgpr3_vgpr4
.LBB0_47:                               ;   in Loop: Header=BB0_25 Depth=1
	s_andn2_saveexec_b64 s[6:7], s[6:7]
; %bb.48:                               ;   in Loop: Header=BB0_25 Depth=1
	v_fma_f64 v[1:2], v[3:4], v[5:6], v[9:10]
; %bb.49:                               ;   in Loop: Header=BB0_25 Depth=1
	s_or_b64 exec, exec, s[6:7]
	v_cmp_nlt_f64_e64 s[6:7], |v[11:12]|, 0.5
	v_add_f64 v[5:6], v[19:20], -v[15:16]
                                        ; implicit-def: $vgpr3_vgpr4
	s_and_saveexec_b64 s[16:17], s[6:7]
	s_xor_b64 s[6:7], exec, s[16:17]
	s_cbranch_execz .LBB0_51
; %bb.50:                               ;   in Loop: Header=BB0_25 Depth=1
	v_add_f64 v[3:4], -v[11:12], 1.0
                                        ; implicit-def: $vgpr11_vgpr12
                                        ; implicit-def: $vgpr15_vgpr16
	v_fma_f64 v[3:4], -v[5:6], v[3:4], v[19:20]
                                        ; implicit-def: $vgpr5_vgpr6
.LBB0_51:                               ;   in Loop: Header=BB0_25 Depth=1
	s_andn2_saveexec_b64 s[6:7], s[6:7]
; %bb.52:                               ;   in Loop: Header=BB0_25 Depth=1
	v_fma_f64 v[3:4], v[5:6], v[11:12], v[15:16]
; %bb.53:                               ;   in Loop: Header=BB0_25 Depth=1
	s_or_b64 exec, exec, s[6:7]
	v_cmp_nlt_f64_e64 s[6:7], |v[17:18]|, 0.5
	v_add_f64 v[7:8], v[23:24], -v[21:22]
                                        ; implicit-def: $vgpr5_vgpr6
	s_and_saveexec_b64 s[16:17], s[6:7]
	s_xor_b64 s[6:7], exec, s[16:17]
	s_cbranch_execnz .LBB0_59
; %bb.54:                               ;   in Loop: Header=BB0_25 Depth=1
	s_andn2_saveexec_b64 s[6:7], s[6:7]
	s_cbranch_execnz .LBB0_60
.LBB0_55:                               ;   in Loop: Header=BB0_25 Depth=1
	s_or_b64 exec, exec, s[6:7]
	s_and_saveexec_b64 s[6:7], vcc
	s_xor_b64 s[6:7], exec, s[6:7]
	s_cbranch_execnz .LBB0_61
.LBB0_56:                               ;   in Loop: Header=BB0_25 Depth=1
	s_or_b64 exec, exec, s[6:7]
	s_and_saveexec_b64 s[6:7], s[0:1]
	s_cbranch_execnz .LBB0_62
.LBB0_57:                               ;   in Loop: Header=BB0_25 Depth=1
	s_or_b64 exec, exec, s[6:7]
	s_and_saveexec_b64 s[0:1], s[2:3]
	s_cbranch_execnz .LBB0_63
.LBB0_58:                               ;   in Loop: Header=BB0_25 Depth=1
	s_or_b64 exec, exec, s[0:1]
	s_and_saveexec_b64 s[0:1], s[4:5]
	s_cbranch_execz .LBB0_24
	s_branch .LBB0_64
.LBB0_59:                               ;   in Loop: Header=BB0_25 Depth=1
	v_add_f64 v[5:6], -v[17:18], 1.0
                                        ; implicit-def: $vgpr17_vgpr18
                                        ; implicit-def: $vgpr21_vgpr22
	v_fma_f64 v[5:6], -v[7:8], v[5:6], v[23:24]
                                        ; implicit-def: $vgpr7_vgpr8
	s_andn2_saveexec_b64 s[6:7], s[6:7]
	s_cbranch_execz .LBB0_55
.LBB0_60:                               ;   in Loop: Header=BB0_25 Depth=1
	v_fma_f64 v[5:6], v[7:8], v[17:18], v[21:22]
	s_or_b64 exec, exec, s[6:7]
	s_and_saveexec_b64 s[6:7], vcc
	s_xor_b64 s[6:7], exec, s[6:7]
	s_cbranch_execz .LBB0_56
.LBB0_61:                               ;   in Loop: Header=BB0_25 Depth=1
	v_mov_b32_e32 v8, s9
	v_add_co_u32_e32 v7, vcc, s8, v51
	v_addc_co_u32_e32 v8, vcc, v52, v8, vcc
	global_store_dwordx2 v[7:8], v[25:26], off
	s_or_b64 exec, exec, s[6:7]
	s_and_saveexec_b64 s[6:7], s[0:1]
	s_cbranch_execz .LBB0_57
.LBB0_62:                               ;   in Loop: Header=BB0_25 Depth=1
	v_mov_b32_e32 v8, s9
	v_add_co_u32_e32 v7, vcc, s8, v61
	v_addc_co_u32_e32 v8, vcc, v62, v8, vcc
	global_store_dwordx2 v[7:8], v[1:2], off
	s_or_b64 exec, exec, s[6:7]
	s_and_saveexec_b64 s[0:1], s[2:3]
	s_cbranch_execz .LBB0_58
.LBB0_63:                               ;   in Loop: Header=BB0_25 Depth=1
	v_mov_b32_e32 v2, s9
	v_add_co_u32_e32 v1, vcc, s8, v43
	v_addc_co_u32_e32 v2, vcc, v44, v2, vcc
	global_store_dwordx2 v[1:2], v[3:4], off
	s_or_b64 exec, exec, s[0:1]
	s_and_saveexec_b64 s[0:1], s[4:5]
	s_cbranch_execz .LBB0_24
.LBB0_64:                               ;   in Loop: Header=BB0_25 Depth=1
	v_mov_b32_e32 v2, s9
	v_add_co_u32_e32 v1, vcc, s8, v35
	v_addc_co_u32_e32 v2, vcc, v36, v2, vcc
	global_store_dwordx2 v[1:2], v[5:6], off
	s_branch .LBB0_24
.LBB0_65:
	s_endpgm
	.section	.rodata,"a",@progbits
	.p2align	6, 0x0
	.amdhsa_kernel _ZN2at6native12_GLOBAL__N_125multi_tensor_apply_kernelINS1_18TensorListMetadataILi4EEENS1_20TernaryOpListFunctorIdLi4ELi3ELi3EEEJNS0_11LerpFunctorIdEEEEEvT_T0_DpT1_
		.amdhsa_group_segment_fixed_size 0
		.amdhsa_private_segment_fixed_size 0
		.amdhsa_kernarg_size 3312
		.amdhsa_user_sgpr_count 6
		.amdhsa_user_sgpr_private_segment_buffer 1
		.amdhsa_user_sgpr_dispatch_ptr 0
		.amdhsa_user_sgpr_queue_ptr 0
		.amdhsa_user_sgpr_kernarg_segment_ptr 1
		.amdhsa_user_sgpr_dispatch_id 0
		.amdhsa_user_sgpr_flat_scratch_init 0
		.amdhsa_user_sgpr_private_segment_size 0
		.amdhsa_uses_dynamic_stack 0
		.amdhsa_system_sgpr_private_segment_wavefront_offset 0
		.amdhsa_system_sgpr_workgroup_id_x 1
		.amdhsa_system_sgpr_workgroup_id_y 0
		.amdhsa_system_sgpr_workgroup_id_z 0
		.amdhsa_system_sgpr_workgroup_info 0
		.amdhsa_system_vgpr_workitem_id 0
		.amdhsa_next_free_vgpr 67
		.amdhsa_next_free_sgpr 36
		.amdhsa_reserve_vcc 1
		.amdhsa_reserve_flat_scratch 0
		.amdhsa_float_round_mode_32 0
		.amdhsa_float_round_mode_16_64 0
		.amdhsa_float_denorm_mode_32 3
		.amdhsa_float_denorm_mode_16_64 3
		.amdhsa_dx10_clamp 1
		.amdhsa_ieee_mode 1
		.amdhsa_fp16_overflow 0
		.amdhsa_exception_fp_ieee_invalid_op 0
		.amdhsa_exception_fp_denorm_src 0
		.amdhsa_exception_fp_ieee_div_zero 0
		.amdhsa_exception_fp_ieee_overflow 0
		.amdhsa_exception_fp_ieee_underflow 0
		.amdhsa_exception_fp_ieee_inexact 0
		.amdhsa_exception_int_div_zero 0
	.end_amdhsa_kernel
	.section	.text._ZN2at6native12_GLOBAL__N_125multi_tensor_apply_kernelINS1_18TensorListMetadataILi4EEENS1_20TernaryOpListFunctorIdLi4ELi3ELi3EEEJNS0_11LerpFunctorIdEEEEEvT_T0_DpT1_,"axG",@progbits,_ZN2at6native12_GLOBAL__N_125multi_tensor_apply_kernelINS1_18TensorListMetadataILi4EEENS1_20TernaryOpListFunctorIdLi4ELi3ELi3EEEJNS0_11LerpFunctorIdEEEEEvT_T0_DpT1_,comdat
.Lfunc_end0:
	.size	_ZN2at6native12_GLOBAL__N_125multi_tensor_apply_kernelINS1_18TensorListMetadataILi4EEENS1_20TernaryOpListFunctorIdLi4ELi3ELi3EEEJNS0_11LerpFunctorIdEEEEEvT_T0_DpT1_, .Lfunc_end0-_ZN2at6native12_GLOBAL__N_125multi_tensor_apply_kernelINS1_18TensorListMetadataILi4EEENS1_20TernaryOpListFunctorIdLi4ELi3ELi3EEEJNS0_11LerpFunctorIdEEEEEvT_T0_DpT1_
                                        ; -- End function
	.set _ZN2at6native12_GLOBAL__N_125multi_tensor_apply_kernelINS1_18TensorListMetadataILi4EEENS1_20TernaryOpListFunctorIdLi4ELi3ELi3EEEJNS0_11LerpFunctorIdEEEEEvT_T0_DpT1_.num_vgpr, 67
	.set _ZN2at6native12_GLOBAL__N_125multi_tensor_apply_kernelINS1_18TensorListMetadataILi4EEENS1_20TernaryOpListFunctorIdLi4ELi3ELi3EEEJNS0_11LerpFunctorIdEEEEEvT_T0_DpT1_.num_agpr, 0
	.set _ZN2at6native12_GLOBAL__N_125multi_tensor_apply_kernelINS1_18TensorListMetadataILi4EEENS1_20TernaryOpListFunctorIdLi4ELi3ELi3EEEJNS0_11LerpFunctorIdEEEEEvT_T0_DpT1_.numbered_sgpr, 36
	.set _ZN2at6native12_GLOBAL__N_125multi_tensor_apply_kernelINS1_18TensorListMetadataILi4EEENS1_20TernaryOpListFunctorIdLi4ELi3ELi3EEEJNS0_11LerpFunctorIdEEEEEvT_T0_DpT1_.num_named_barrier, 0
	.set _ZN2at6native12_GLOBAL__N_125multi_tensor_apply_kernelINS1_18TensorListMetadataILi4EEENS1_20TernaryOpListFunctorIdLi4ELi3ELi3EEEJNS0_11LerpFunctorIdEEEEEvT_T0_DpT1_.private_seg_size, 0
	.set _ZN2at6native12_GLOBAL__N_125multi_tensor_apply_kernelINS1_18TensorListMetadataILi4EEENS1_20TernaryOpListFunctorIdLi4ELi3ELi3EEEJNS0_11LerpFunctorIdEEEEEvT_T0_DpT1_.uses_vcc, 1
	.set _ZN2at6native12_GLOBAL__N_125multi_tensor_apply_kernelINS1_18TensorListMetadataILi4EEENS1_20TernaryOpListFunctorIdLi4ELi3ELi3EEEJNS0_11LerpFunctorIdEEEEEvT_T0_DpT1_.uses_flat_scratch, 0
	.set _ZN2at6native12_GLOBAL__N_125multi_tensor_apply_kernelINS1_18TensorListMetadataILi4EEENS1_20TernaryOpListFunctorIdLi4ELi3ELi3EEEJNS0_11LerpFunctorIdEEEEEvT_T0_DpT1_.has_dyn_sized_stack, 0
	.set _ZN2at6native12_GLOBAL__N_125multi_tensor_apply_kernelINS1_18TensorListMetadataILi4EEENS1_20TernaryOpListFunctorIdLi4ELi3ELi3EEEJNS0_11LerpFunctorIdEEEEEvT_T0_DpT1_.has_recursion, 0
	.set _ZN2at6native12_GLOBAL__N_125multi_tensor_apply_kernelINS1_18TensorListMetadataILi4EEENS1_20TernaryOpListFunctorIdLi4ELi3ELi3EEEJNS0_11LerpFunctorIdEEEEEvT_T0_DpT1_.has_indirect_call, 0
	.section	.AMDGPU.csdata,"",@progbits
; Kernel info:
; codeLenInByte = 2392
; TotalNumSgprs: 40
; NumVgprs: 67
; ScratchSize: 0
; MemoryBound: 1
; FloatMode: 240
; IeeeMode: 1
; LDSByteSize: 0 bytes/workgroup (compile time only)
; SGPRBlocks: 4
; VGPRBlocks: 16
; NumSGPRsForWavesPerEU: 40
; NumVGPRsForWavesPerEU: 67
; Occupancy: 3
; WaveLimiterHint : 0
; COMPUTE_PGM_RSRC2:SCRATCH_EN: 0
; COMPUTE_PGM_RSRC2:USER_SGPR: 6
; COMPUTE_PGM_RSRC2:TRAP_HANDLER: 0
; COMPUTE_PGM_RSRC2:TGID_X_EN: 1
; COMPUTE_PGM_RSRC2:TGID_Y_EN: 0
; COMPUTE_PGM_RSRC2:TGID_Z_EN: 0
; COMPUTE_PGM_RSRC2:TIDIG_COMP_CNT: 0
	.section	.text._ZN2at6native12_GLOBAL__N_125multi_tensor_apply_kernelINS1_18TensorListMetadataILi4EEENS1_20TernaryOpListFunctorIfLi4ELi3ELi3EEEJNS0_11LerpFunctorIfEEEEEvT_T0_DpT1_,"axG",@progbits,_ZN2at6native12_GLOBAL__N_125multi_tensor_apply_kernelINS1_18TensorListMetadataILi4EEENS1_20TernaryOpListFunctorIfLi4ELi3ELi3EEEJNS0_11LerpFunctorIfEEEEEvT_T0_DpT1_,comdat
	.globl	_ZN2at6native12_GLOBAL__N_125multi_tensor_apply_kernelINS1_18TensorListMetadataILi4EEENS1_20TernaryOpListFunctorIfLi4ELi3ELi3EEEJNS0_11LerpFunctorIfEEEEEvT_T0_DpT1_ ; -- Begin function _ZN2at6native12_GLOBAL__N_125multi_tensor_apply_kernelINS1_18TensorListMetadataILi4EEENS1_20TernaryOpListFunctorIfLi4ELi3ELi3EEEJNS0_11LerpFunctorIfEEEEEvT_T0_DpT1_
	.p2align	8
	.type	_ZN2at6native12_GLOBAL__N_125multi_tensor_apply_kernelINS1_18TensorListMetadataILi4EEENS1_20TernaryOpListFunctorIfLi4ELi3ELi3EEEJNS0_11LerpFunctorIfEEEEEvT_T0_DpT1_,@function
_ZN2at6native12_GLOBAL__N_125multi_tensor_apply_kernelINS1_18TensorListMetadataILi4EEENS1_20TernaryOpListFunctorIfLi4ELi3ELi3EEEJNS0_11LerpFunctorIfEEEEEvT_T0_DpT1_: ; @_ZN2at6native12_GLOBAL__N_125multi_tensor_apply_kernelINS1_18TensorListMetadataILi4EEENS1_20TernaryOpListFunctorIfLi4ELi3ELi3EEEJNS0_11LerpFunctorIfEEEEEvT_T0_DpT1_
; %bb.0:
	v_mov_b32_e32 v1, s6
	global_load_ubyte v1, v1, s[4:5] offset:1440
	s_add_u32 s0, s4, s6
	s_mul_hi_u32 s2, s6, 3
	s_mul_i32 s6, s6, 3
	s_addc_u32 s7, s5, 0
	s_add_u32 s6, s0, s6
	s_addc_u32 s7, s7, s2
	s_load_dword s6, s[6:7], 0x6e0
	s_mov_b32 s1, 0
	s_mov_b32 s3, s1
	;; [unrolled: 1-line block ×3, first 2 shown]
	s_waitcnt lgkmcnt(0)
	s_ashr_i32 s7, s6, 31
	s_lshl_b64 s[8:9], s[6:7], 18
	s_waitcnt vmcnt(0)
	v_readfirstlane_b32 s0, v1
	s_lshl_b32 s0, s0, 3
	s_load_dwordx2 s[22:23], s[4:5], s0 offset:0x480
	s_load_dwordx2 s[20:21], s[4:5], s0 offset:0x0
	;; [unrolled: 1-line block ×5, first 2 shown]
	s_waitcnt lgkmcnt(0)
	s_add_u32 s26, s20, s8
	s_addc_u32 s27, s21, s9
	s_and_b32 s0, s26, 15
	s_add_u32 s28, s18, s8
	s_addc_u32 s29, s19, s9
	s_and_b32 s2, s28, 15
	s_cmp_lg_u64 s[2:3], 0
	s_cselect_b64 s[2:3], -1, 0
	s_add_u32 s30, s16, s8
	s_addc_u32 s31, s17, s9
	s_add_u32 s33, s14, s8
	s_addc_u32 s34, s15, s9
	s_or_b32 s10, s33, s30
	s_and_b32 s10, s10, 15
	s_cmp_lg_u32 s10, 0
	s_cselect_b64 s[12:13], -1, 0
	s_lshl_b64 s[6:7], s[6:7], 16
	s_or_b64 s[2:3], s[12:13], s[2:3]
	s_sub_u32 s12, s22, s6
	s_subb_u32 s13, s23, s7
	s_and_b32 s10, s22, 3
	s_or_b64 s[0:1], s[0:1], s[10:11]
	s_cmp_lg_u64 s[0:1], 0
	s_cselect_b64 s[0:1], -1, 0
	s_or_b64 s[0:1], s[2:3], s[0:1]
	s_andn2_b64 vcc, exec, s[0:1]
	s_mov_b64 s[0:1], -1
	s_cbranch_vccz .LBB1_5
; %bb.1:
	v_mov_b32_e32 v1, 0x10000
	v_mov_b32_e32 v2, 0
	v_cmp_lt_i64_e32 vcc, s[12:13], v[1:2]
	v_mov_b32_e32 v2, 0
	s_and_b64 s[0:1], vcc, exec
	s_cselect_b32 s11, s13, 0
	s_cselect_b32 s10, s12, 0x10000
	v_lshlrev_b32_e32 v1, 2, v0
	v_cmp_gt_i64_e32 vcc, s[10:11], v[1:2]
	s_and_saveexec_b64 s[22:23], vcc
	s_cbranch_execz .LBB1_4
; %bb.2:
	s_load_dword s0, s[4:5], 0xbfc
	v_mov_b32_e32 v1, v2
	v_mov_b32_e32 v2, v1
	v_lshlrev_b32_e32 v3, 4, v0
	s_mov_b64 s[24:25], 0
	s_waitcnt lgkmcnt(0)
	s_and_b32 s35, s0, 0xffff
	s_lshl_b32 s36, s35, 4
	v_mov_b32_e32 v1, v0
.LBB1_3:                                ; =>This Inner Loop Header: Depth=1
	v_mov_b32_e32 v4, s27
	v_add_co_u32_e64 v20, s[2:3], s26, v3
	v_mov_b32_e32 v5, s29
	v_add_co_u32_e32 v16, vcc, s28, v3
	v_mov_b32_e32 v6, s31
	v_add_co_u32_e64 v18, s[0:1], s30, v3
	v_addc_co_u32_e64 v21, s[2:3], 0, v4, s[2:3]
	v_addc_co_u32_e32 v17, vcc, 0, v5, vcc
	v_addc_co_u32_e64 v19, vcc, 0, v6, s[0:1]
	global_load_dwordx4 v[4:7], v[20:21], off
	global_load_dwordx4 v[8:11], v[16:17], off
	;; [unrolled: 1-line block ×3, first 2 shown]
	v_add_co_u32_e32 v16, vcc, s33, v3
	s_add_u32 s33, s33, s36
	v_mov_b32_e32 v17, s34
	s_addc_u32 s34, s34, 0
	v_add_co_u32_e64 v1, s[0:1], s35, v1
	s_add_u32 s26, s26, s36
	v_addc_co_u32_e64 v2, s[0:1], 0, v2, s[0:1]
	s_addc_u32 s27, s27, 0
	v_lshlrev_b64 v[18:19], 2, v[1:2]
	s_add_u32 s30, s30, s36
	v_addc_co_u32_e32 v17, vcc, 0, v17, vcc
	s_addc_u32 s31, s31, 0
	v_cmp_le_i64_e32 vcc, s[10:11], v[18:19]
	s_add_u32 s28, s28, s36
	s_addc_u32 s29, s29, 0
	s_or_b64 s[24:25], vcc, s[24:25]
	s_waitcnt vmcnt(1)
	v_sub_f32_e32 v18, v8, v4
	s_waitcnt vmcnt(0)
	v_sub_f32_e32 v19, 1.0, v12
	v_sub_f32_e32 v20, v9, v5
	v_sub_f32_e32 v21, 1.0, v13
	v_sub_f32_e32 v22, v10, v6
	;; [unrolled: 2-line block ×3, first 2 shown]
	v_sub_f32_e32 v25, 1.0, v15
	v_fma_f32 v4, v18, v12, v4
	v_fma_f32 v8, -v18, v19, v8
	v_fma_f32 v5, v20, v13, v5
	v_fma_f32 v9, -v20, v21, v9
	v_cmp_lt_f32_e64 vcc, |v13|, 0.5
	v_fma_f32 v6, v22, v14, v6
	v_fma_f32 v10, -v22, v23, v10
	v_cmp_lt_f32_e64 s[0:1], |v14|, 0.5
	v_fmac_f32_e32 v7, v24, v15
	v_fma_f32 v11, -v24, v25, v11
	v_cmp_lt_f32_e64 s[2:3], |v15|, 0.5
	v_cmp_lt_f32_e64 s[6:7], |v12|, 0.5
	v_cndmask_b32_e64 v4, v8, v4, s[6:7]
	v_cndmask_b32_e32 v5, v9, v5, vcc
	v_cndmask_b32_e64 v6, v10, v6, s[0:1]
	v_cndmask_b32_e64 v7, v11, v7, s[2:3]
	global_store_dwordx4 v[16:17], v[4:7], off
	s_andn2_b64 exec, exec, s[24:25]
	s_cbranch_execnz .LBB1_3
.LBB1_4:
	s_or_b64 exec, exec, s[22:23]
	s_mov_b64 s[0:1], 0
.LBB1_5:
	s_andn2_b64 vcc, exec, s[0:1]
	s_cbranch_vccnz .LBB1_33
; %bb.6:
	v_cmp_lt_i64_e64 s[0:1], s[12:13], 1
	s_and_b64 vcc, exec, s[0:1]
	s_cbranch_vccnz .LBB1_33
; %bb.7:
	v_mov_b32_e32 v1, 0x10000
	s_load_dword s2, s[4:5], 0xbfc
	v_mov_b32_e32 v2, 0
	v_cmp_lt_i64_e32 vcc, s[12:13], v[1:2]
	v_mov_b32_e32 v24, 0
	s_and_b64 s[0:1], vcc, exec
	s_cselect_b32 s11, s13, 0
	s_cselect_b32 s10, s12, 0x10000
	s_waitcnt lgkmcnt(0)
	s_and_b32 s2, s2, 0xffff
	v_lshlrev_b32_e32 v23, 2, v0
	v_mad_u64_u32 v[7:8], s[0:1], s2, 12, v[23:24]
	v_cmp_lt_u64_e32 vcc, s[12:13], v[1:2]
	v_mov_b32_e32 v2, s21
	s_and_b64 s[0:1], vcc, exec
	v_add_co_u32_e32 v1, vcc, s20, v7
	v_addc_co_u32_e32 v2, vcc, v2, v8, vcc
	v_mov_b32_e32 v4, s19
	v_add_co_u32_e32 v3, vcc, s18, v7
	v_addc_co_u32_e32 v4, vcc, v4, v8, vcc
	v_mov_b32_e32 v6, s17
	;; [unrolled: 3-line block ×3, first 2 shown]
	v_add_co_u32_e32 v7, vcc, s14, v7
	s_cselect_b32 s13, s13, 0
	s_cselect_b32 s12, s12, 0x10000
	v_addc_co_u32_e32 v8, vcc, v9, v8, vcc
	s_lshl_b32 s0, s2, 3
	v_add_co_u32_e32 v15, vcc, s0, v23
	v_addc_co_u32_e64 v16, s[0:1], 0, 0, vcc
	v_mov_b32_e32 v10, s21
	v_add_co_u32_e32 v9, vcc, s20, v15
	v_addc_co_u32_e32 v10, vcc, v10, v16, vcc
	v_mov_b32_e32 v12, s19
	v_add_co_u32_e32 v11, vcc, s18, v15
	v_addc_co_u32_e32 v12, vcc, v12, v16, vcc
	v_mov_b32_e32 v14, s17
	v_add_co_u32_e32 v13, vcc, s16, v15
	v_addc_co_u32_e32 v14, vcc, v14, v16, vcc
	v_mov_b32_e32 v17, s15
	v_add_co_u32_e32 v15, vcc, s14, v15
	v_addc_co_u32_e32 v16, vcc, v17, v16, vcc
	v_mov_b32_e32 v18, s21
	v_add_co_u32_e32 v17, vcc, s20, v23
	v_addc_co_u32_e32 v18, vcc, 0, v18, vcc
	v_mov_b32_e32 v20, s19
	v_add_co_u32_e32 v19, vcc, s18, v23
	v_addc_co_u32_e32 v20, vcc, 0, v20, vcc
	v_mov_b32_e32 v22, s17
	v_add_co_u32_e32 v21, vcc, s16, v23
	v_addc_co_u32_e32 v22, vcc, 0, v22, vcc
	v_mov_b32_e32 v24, s15
	v_add_co_u32_e32 v23, vcc, s14, v23
	v_addc_co_u32_e32 v24, vcc, 0, v24, vcc
	v_add_co_u32_e32 v25, vcc, s2, v0
	v_lshlrev_b32_e32 v33, 2, v25
	v_addc_co_u32_e64 v26, s[0:1], 0, 0, vcc
	v_mov_b32_e32 v28, s21
	v_add_co_u32_e32 v27, vcc, s20, v33
	v_addc_co_u32_e32 v28, vcc, 0, v28, vcc
	v_mov_b32_e32 v30, s19
	v_add_co_u32_e32 v29, vcc, s18, v33
	v_addc_co_u32_e32 v30, vcc, 0, v30, vcc
	;; [unrolled: 3-line block ×3, first 2 shown]
	v_mov_b32_e32 v34, s15
	v_add_co_u32_e32 v33, vcc, s14, v33
	s_mul_i32 s4, s2, 3
	v_addc_co_u32_e32 v34, vcc, 0, v34, vcc
	s_lshl_b32 s3, s2, 1
	v_add_co_u32_e32 v35, vcc, s4, v0
	v_addc_co_u32_e64 v36, s[0:1], 0, 0, vcc
	v_add_co_u32_e32 v37, vcc, s3, v0
	s_lshl_b32 s22, s2, 2
	s_lshl_b32 s23, s2, 4
	s_mov_b64 s[14:15], 0
	v_addc_co_u32_e64 v38, s[0:1], 0, 0, vcc
	s_branch .LBB1_9
.LBB1_8:                                ;   in Loop: Header=BB1_9 Depth=1
	s_or_b64 exec, exec, s[0:1]
	v_add_co_u32_e32 v17, vcc, s23, v17
	v_addc_co_u32_e32 v18, vcc, 0, v18, vcc
	v_add_co_u32_e32 v19, vcc, s23, v19
	v_addc_co_u32_e32 v20, vcc, 0, v20, vcc
	;; [unrolled: 2-line block ×14, first 2 shown]
	s_add_u32 s14, s14, s22
	v_add_co_u32_e32 v31, vcc, s23, v31
	s_waitcnt vmcnt(0)
	v_mov_b32_e32 v40, s11
	s_addc_u32 s15, s15, 0
	v_addc_co_u32_e32 v32, vcc, 0, v32, vcc
	v_mov_b32_e32 v39, s10
	v_cmp_ge_i64_e32 vcc, s[14:15], v[39:40]
	v_add_co_u32_e64 v33, s[0:1], s23, v33
	v_addc_co_u32_e64 v34, s[0:1], 0, v34, s[0:1]
	s_cbranch_vccnz .LBB1_33
.LBB1_9:                                ; =>This Inner Loop Header: Depth=1
	v_mov_b32_e32 v40, s15
	v_add_co_u32_e32 v39, vcc, s14, v0
	v_addc_co_u32_e32 v40, vcc, 0, v40, vcc
	v_cmp_gt_u64_e32 vcc, s[12:13], v[39:40]
	v_mov_b32_e32 v40, 0
	v_mov_b32_e32 v39, 0
	s_and_saveexec_b64 s[2:3], vcc
	s_cbranch_execz .LBB1_11
; %bb.10:                               ;   in Loop: Header=BB1_9 Depth=1
	v_mov_b32_e32 v39, s9
	v_add_co_u32_e64 v41, s[0:1], s8, v19
	v_addc_co_u32_e64 v42, s[0:1], v20, v39, s[0:1]
	v_add_co_u32_e64 v43, s[0:1], s8, v17
	v_addc_co_u32_e64 v44, s[0:1], v18, v39, s[0:1]
	global_load_dword v39, v[43:44], off
	global_load_dword v40, v[41:42], off
.LBB1_11:                               ;   in Loop: Header=BB1_9 Depth=1
	s_or_b64 exec, exec, s[2:3]
	v_mov_b32_e32 v41, 0
	v_mov_b32_e32 v42, 0
	s_and_saveexec_b64 s[2:3], vcc
	s_cbranch_execz .LBB1_13
; %bb.12:                               ;   in Loop: Header=BB1_9 Depth=1
	v_mov_b32_e32 v43, s9
	v_add_co_u32_e64 v42, s[0:1], s8, v21
	v_addc_co_u32_e64 v43, s[0:1], v22, v43, s[0:1]
	global_load_dword v42, v[42:43], off
.LBB1_13:                               ;   in Loop: Header=BB1_9 Depth=1
	s_or_b64 exec, exec, s[2:3]
	v_mov_b32_e32 v44, s15
	v_add_co_u32_e64 v43, s[0:1], s14, v25
	v_addc_co_u32_e64 v44, s[0:1], v26, v44, s[0:1]
	v_cmp_gt_u64_e64 s[0:1], s[12:13], v[43:44]
	v_mov_b32_e32 v43, 0
	s_and_saveexec_b64 s[4:5], s[0:1]
	s_cbranch_execz .LBB1_15
; %bb.14:                               ;   in Loop: Header=BB1_9 Depth=1
	v_mov_b32_e32 v41, s9
	v_add_co_u32_e64 v44, s[2:3], s8, v29
	v_addc_co_u32_e64 v45, s[2:3], v30, v41, s[2:3]
	v_add_co_u32_e64 v46, s[2:3], s8, v27
	v_addc_co_u32_e64 v47, s[2:3], v28, v41, s[2:3]
	global_load_dword v43, v[46:47], off
	global_load_dword v41, v[44:45], off
.LBB1_15:                               ;   in Loop: Header=BB1_9 Depth=1
	s_or_b64 exec, exec, s[4:5]
	v_mov_b32_e32 v44, 0
	v_mov_b32_e32 v45, 0
	s_and_saveexec_b64 s[4:5], s[0:1]
	s_cbranch_execz .LBB1_17
; %bb.16:                               ;   in Loop: Header=BB1_9 Depth=1
	v_mov_b32_e32 v46, s9
	v_add_co_u32_e64 v45, s[2:3], s8, v31
	v_addc_co_u32_e64 v46, s[2:3], v32, v46, s[2:3]
	global_load_dword v45, v[45:46], off
.LBB1_17:                               ;   in Loop: Header=BB1_9 Depth=1
	s_or_b64 exec, exec, s[4:5]
	v_mov_b32_e32 v47, s15
	v_add_co_u32_e64 v46, s[2:3], s14, v37
	v_addc_co_u32_e64 v47, s[2:3], v38, v47, s[2:3]
	v_cmp_gt_u64_e64 s[2:3], s[12:13], v[46:47]
	v_mov_b32_e32 v46, 0
	s_and_saveexec_b64 s[6:7], s[2:3]
	s_cbranch_execz .LBB1_19
; %bb.18:                               ;   in Loop: Header=BB1_9 Depth=1
	v_mov_b32_e32 v44, s9
	v_add_co_u32_e64 v47, s[4:5], s8, v11
	v_addc_co_u32_e64 v48, s[4:5], v12, v44, s[4:5]
	v_add_co_u32_e64 v49, s[4:5], s8, v9
	v_addc_co_u32_e64 v50, s[4:5], v10, v44, s[4:5]
	global_load_dword v46, v[49:50], off
	global_load_dword v44, v[47:48], off
.LBB1_19:                               ;   in Loop: Header=BB1_9 Depth=1
	s_or_b64 exec, exec, s[6:7]
	v_mov_b32_e32 v47, 0
	v_mov_b32_e32 v48, 0
	s_and_saveexec_b64 s[6:7], s[2:3]
	s_cbranch_execz .LBB1_21
; %bb.20:                               ;   in Loop: Header=BB1_9 Depth=1
	v_mov_b32_e32 v49, s9
	v_add_co_u32_e64 v48, s[4:5], s8, v13
	v_addc_co_u32_e64 v49, s[4:5], v14, v49, s[4:5]
	global_load_dword v48, v[48:49], off
.LBB1_21:                               ;   in Loop: Header=BB1_9 Depth=1
	s_or_b64 exec, exec, s[6:7]
	v_mov_b32_e32 v50, s15
	v_add_co_u32_e64 v49, s[4:5], s14, v35
	v_addc_co_u32_e64 v50, s[4:5], v36, v50, s[4:5]
	v_cmp_gt_u64_e64 s[4:5], s[12:13], v[49:50]
	v_mov_b32_e32 v49, 0
	s_and_saveexec_b64 s[16:17], s[4:5]
	s_cbranch_execnz .LBB1_27
; %bb.22:                               ;   in Loop: Header=BB1_9 Depth=1
	s_or_b64 exec, exec, s[16:17]
	v_mov_b32_e32 v50, 0
	s_and_saveexec_b64 s[16:17], s[4:5]
	s_cbranch_execnz .LBB1_28
.LBB1_23:                               ;   in Loop: Header=BB1_9 Depth=1
	s_or_b64 exec, exec, s[16:17]
	s_and_saveexec_b64 s[6:7], vcc
	s_cbranch_execnz .LBB1_29
.LBB1_24:                               ;   in Loop: Header=BB1_9 Depth=1
	s_or_b64 exec, exec, s[6:7]
	s_and_saveexec_b64 s[6:7], s[0:1]
	s_cbranch_execnz .LBB1_30
.LBB1_25:                               ;   in Loop: Header=BB1_9 Depth=1
	s_or_b64 exec, exec, s[6:7]
	s_and_saveexec_b64 s[0:1], s[2:3]
	s_cbranch_execnz .LBB1_31
.LBB1_26:                               ;   in Loop: Header=BB1_9 Depth=1
	s_or_b64 exec, exec, s[0:1]
	s_and_saveexec_b64 s[0:1], s[4:5]
	s_cbranch_execz .LBB1_8
	s_branch .LBB1_32
.LBB1_27:                               ;   in Loop: Header=BB1_9 Depth=1
	v_mov_b32_e32 v47, s9
	v_add_co_u32_e64 v50, s[6:7], s8, v3
	v_addc_co_u32_e64 v51, s[6:7], v4, v47, s[6:7]
	v_add_co_u32_e64 v52, s[6:7], s8, v1
	v_addc_co_u32_e64 v53, s[6:7], v2, v47, s[6:7]
	global_load_dword v49, v[52:53], off
	global_load_dword v47, v[50:51], off
	s_or_b64 exec, exec, s[16:17]
	v_mov_b32_e32 v50, 0
	s_and_saveexec_b64 s[16:17], s[4:5]
	s_cbranch_execz .LBB1_23
.LBB1_28:                               ;   in Loop: Header=BB1_9 Depth=1
	v_mov_b32_e32 v51, s9
	v_add_co_u32_e64 v50, s[6:7], s8, v5
	v_addc_co_u32_e64 v51, s[6:7], v6, v51, s[6:7]
	global_load_dword v50, v[50:51], off
	s_or_b64 exec, exec, s[16:17]
	s_and_saveexec_b64 s[6:7], vcc
	s_cbranch_execz .LBB1_24
.LBB1_29:                               ;   in Loop: Header=BB1_9 Depth=1
	v_mov_b32_e32 v52, s9
	v_add_co_u32_e32 v51, vcc, s8, v23
	v_addc_co_u32_e32 v52, vcc, v24, v52, vcc
	s_waitcnt vmcnt(0)
	v_sub_f32_e32 v53, v40, v39
	v_sub_f32_e32 v54, 1.0, v42
	v_fmac_f32_e32 v39, v53, v42
	v_fma_f32 v40, -v53, v54, v40
	v_cmp_lt_f32_e64 vcc, |v42|, 0.5
	v_cndmask_b32_e32 v39, v40, v39, vcc
	global_store_dword v[51:52], v39, off
	s_or_b64 exec, exec, s[6:7]
	s_and_saveexec_b64 s[6:7], s[0:1]
	s_cbranch_execz .LBB1_25
.LBB1_30:                               ;   in Loop: Header=BB1_9 Depth=1
	s_waitcnt vmcnt(0)
	v_sub_f32_e32 v39, v41, v43
	v_sub_f32_e32 v40, 1.0, v45
	v_fmac_f32_e32 v43, v39, v45
	v_fma_f32 v39, -v39, v40, v41
	v_cmp_lt_f32_e64 vcc, |v45|, 0.5
	v_cndmask_b32_e32 v41, v39, v43, vcc
	v_mov_b32_e32 v40, s9
	v_add_co_u32_e32 v39, vcc, s8, v33
	v_addc_co_u32_e32 v40, vcc, v34, v40, vcc
	global_store_dword v[39:40], v41, off
	s_or_b64 exec, exec, s[6:7]
	s_and_saveexec_b64 s[0:1], s[2:3]
	s_cbranch_execz .LBB1_26
.LBB1_31:                               ;   in Loop: Header=BB1_9 Depth=1
	s_waitcnt vmcnt(0)
	v_sub_f32_e32 v39, v44, v46
	v_sub_f32_e32 v40, 1.0, v48
	v_fmac_f32_e32 v46, v39, v48
	v_fma_f32 v39, -v39, v40, v44
	v_cmp_lt_f32_e64 vcc, |v48|, 0.5
	v_cndmask_b32_e32 v41, v39, v46, vcc
	v_mov_b32_e32 v40, s9
	v_add_co_u32_e32 v39, vcc, s8, v15
	v_addc_co_u32_e32 v40, vcc, v16, v40, vcc
	global_store_dword v[39:40], v41, off
	s_or_b64 exec, exec, s[0:1]
	s_and_saveexec_b64 s[0:1], s[4:5]
	s_cbranch_execz .LBB1_8
.LBB1_32:                               ;   in Loop: Header=BB1_9 Depth=1
	s_waitcnt vmcnt(0)
	v_sub_f32_e32 v39, v47, v49
	v_sub_f32_e32 v40, 1.0, v50
	v_fmac_f32_e32 v49, v39, v50
	v_fma_f32 v39, -v39, v40, v47
	v_cmp_lt_f32_e64 vcc, |v50|, 0.5
	v_cndmask_b32_e32 v41, v39, v49, vcc
	v_mov_b32_e32 v40, s9
	v_add_co_u32_e32 v39, vcc, s8, v7
	v_addc_co_u32_e32 v40, vcc, v8, v40, vcc
	global_store_dword v[39:40], v41, off
	s_branch .LBB1_8
.LBB1_33:
	s_endpgm
	.section	.rodata,"a",@progbits
	.p2align	6, 0x0
	.amdhsa_kernel _ZN2at6native12_GLOBAL__N_125multi_tensor_apply_kernelINS1_18TensorListMetadataILi4EEENS1_20TernaryOpListFunctorIfLi4ELi3ELi3EEEJNS0_11LerpFunctorIfEEEEEvT_T0_DpT1_
		.amdhsa_group_segment_fixed_size 0
		.amdhsa_private_segment_fixed_size 0
		.amdhsa_kernarg_size 3312
		.amdhsa_user_sgpr_count 6
		.amdhsa_user_sgpr_private_segment_buffer 1
		.amdhsa_user_sgpr_dispatch_ptr 0
		.amdhsa_user_sgpr_queue_ptr 0
		.amdhsa_user_sgpr_kernarg_segment_ptr 1
		.amdhsa_user_sgpr_dispatch_id 0
		.amdhsa_user_sgpr_flat_scratch_init 0
		.amdhsa_user_sgpr_private_segment_size 0
		.amdhsa_uses_dynamic_stack 0
		.amdhsa_system_sgpr_private_segment_wavefront_offset 0
		.amdhsa_system_sgpr_workgroup_id_x 1
		.amdhsa_system_sgpr_workgroup_id_y 0
		.amdhsa_system_sgpr_workgroup_id_z 0
		.amdhsa_system_sgpr_workgroup_info 0
		.amdhsa_system_vgpr_workitem_id 0
		.amdhsa_next_free_vgpr 55
		.amdhsa_next_free_sgpr 37
		.amdhsa_reserve_vcc 1
		.amdhsa_reserve_flat_scratch 0
		.amdhsa_float_round_mode_32 0
		.amdhsa_float_round_mode_16_64 0
		.amdhsa_float_denorm_mode_32 3
		.amdhsa_float_denorm_mode_16_64 3
		.amdhsa_dx10_clamp 1
		.amdhsa_ieee_mode 1
		.amdhsa_fp16_overflow 0
		.amdhsa_exception_fp_ieee_invalid_op 0
		.amdhsa_exception_fp_denorm_src 0
		.amdhsa_exception_fp_ieee_div_zero 0
		.amdhsa_exception_fp_ieee_overflow 0
		.amdhsa_exception_fp_ieee_underflow 0
		.amdhsa_exception_fp_ieee_inexact 0
		.amdhsa_exception_int_div_zero 0
	.end_amdhsa_kernel
	.section	.text._ZN2at6native12_GLOBAL__N_125multi_tensor_apply_kernelINS1_18TensorListMetadataILi4EEENS1_20TernaryOpListFunctorIfLi4ELi3ELi3EEEJNS0_11LerpFunctorIfEEEEEvT_T0_DpT1_,"axG",@progbits,_ZN2at6native12_GLOBAL__N_125multi_tensor_apply_kernelINS1_18TensorListMetadataILi4EEENS1_20TernaryOpListFunctorIfLi4ELi3ELi3EEEJNS0_11LerpFunctorIfEEEEEvT_T0_DpT1_,comdat
.Lfunc_end1:
	.size	_ZN2at6native12_GLOBAL__N_125multi_tensor_apply_kernelINS1_18TensorListMetadataILi4EEENS1_20TernaryOpListFunctorIfLi4ELi3ELi3EEEJNS0_11LerpFunctorIfEEEEEvT_T0_DpT1_, .Lfunc_end1-_ZN2at6native12_GLOBAL__N_125multi_tensor_apply_kernelINS1_18TensorListMetadataILi4EEENS1_20TernaryOpListFunctorIfLi4ELi3ELi3EEEJNS0_11LerpFunctorIfEEEEEvT_T0_DpT1_
                                        ; -- End function
	.set _ZN2at6native12_GLOBAL__N_125multi_tensor_apply_kernelINS1_18TensorListMetadataILi4EEENS1_20TernaryOpListFunctorIfLi4ELi3ELi3EEEJNS0_11LerpFunctorIfEEEEEvT_T0_DpT1_.num_vgpr, 55
	.set _ZN2at6native12_GLOBAL__N_125multi_tensor_apply_kernelINS1_18TensorListMetadataILi4EEENS1_20TernaryOpListFunctorIfLi4ELi3ELi3EEEJNS0_11LerpFunctorIfEEEEEvT_T0_DpT1_.num_agpr, 0
	.set _ZN2at6native12_GLOBAL__N_125multi_tensor_apply_kernelINS1_18TensorListMetadataILi4EEENS1_20TernaryOpListFunctorIfLi4ELi3ELi3EEEJNS0_11LerpFunctorIfEEEEEvT_T0_DpT1_.numbered_sgpr, 37
	.set _ZN2at6native12_GLOBAL__N_125multi_tensor_apply_kernelINS1_18TensorListMetadataILi4EEENS1_20TernaryOpListFunctorIfLi4ELi3ELi3EEEJNS0_11LerpFunctorIfEEEEEvT_T0_DpT1_.num_named_barrier, 0
	.set _ZN2at6native12_GLOBAL__N_125multi_tensor_apply_kernelINS1_18TensorListMetadataILi4EEENS1_20TernaryOpListFunctorIfLi4ELi3ELi3EEEJNS0_11LerpFunctorIfEEEEEvT_T0_DpT1_.private_seg_size, 0
	.set _ZN2at6native12_GLOBAL__N_125multi_tensor_apply_kernelINS1_18TensorListMetadataILi4EEENS1_20TernaryOpListFunctorIfLi4ELi3ELi3EEEJNS0_11LerpFunctorIfEEEEEvT_T0_DpT1_.uses_vcc, 1
	.set _ZN2at6native12_GLOBAL__N_125multi_tensor_apply_kernelINS1_18TensorListMetadataILi4EEENS1_20TernaryOpListFunctorIfLi4ELi3ELi3EEEJNS0_11LerpFunctorIfEEEEEvT_T0_DpT1_.uses_flat_scratch, 0
	.set _ZN2at6native12_GLOBAL__N_125multi_tensor_apply_kernelINS1_18TensorListMetadataILi4EEENS1_20TernaryOpListFunctorIfLi4ELi3ELi3EEEJNS0_11LerpFunctorIfEEEEEvT_T0_DpT1_.has_dyn_sized_stack, 0
	.set _ZN2at6native12_GLOBAL__N_125multi_tensor_apply_kernelINS1_18TensorListMetadataILi4EEENS1_20TernaryOpListFunctorIfLi4ELi3ELi3EEEJNS0_11LerpFunctorIfEEEEEvT_T0_DpT1_.has_recursion, 0
	.set _ZN2at6native12_GLOBAL__N_125multi_tensor_apply_kernelINS1_18TensorListMetadataILi4EEENS1_20TernaryOpListFunctorIfLi4ELi3ELi3EEEJNS0_11LerpFunctorIfEEEEEvT_T0_DpT1_.has_indirect_call, 0
	.section	.AMDGPU.csdata,"",@progbits
; Kernel info:
; codeLenInByte = 2128
; TotalNumSgprs: 41
; NumVgprs: 55
; ScratchSize: 0
; MemoryBound: 0
; FloatMode: 240
; IeeeMode: 1
; LDSByteSize: 0 bytes/workgroup (compile time only)
; SGPRBlocks: 5
; VGPRBlocks: 13
; NumSGPRsForWavesPerEU: 41
; NumVGPRsForWavesPerEU: 55
; Occupancy: 4
; WaveLimiterHint : 0
; COMPUTE_PGM_RSRC2:SCRATCH_EN: 0
; COMPUTE_PGM_RSRC2:USER_SGPR: 6
; COMPUTE_PGM_RSRC2:TRAP_HANDLER: 0
; COMPUTE_PGM_RSRC2:TGID_X_EN: 1
; COMPUTE_PGM_RSRC2:TGID_Y_EN: 0
; COMPUTE_PGM_RSRC2:TGID_Z_EN: 0
; COMPUTE_PGM_RSRC2:TIDIG_COMP_CNT: 0
	.section	.text._ZN2at6native12_GLOBAL__N_125multi_tensor_apply_kernelINS1_18TensorListMetadataILi4EEENS1_20TernaryOpListFunctorIN3c107complexIdEELi4ELi3ELi3EEEJNS0_11LerpFunctorIS8_EEEEEvT_T0_DpT1_,"axG",@progbits,_ZN2at6native12_GLOBAL__N_125multi_tensor_apply_kernelINS1_18TensorListMetadataILi4EEENS1_20TernaryOpListFunctorIN3c107complexIdEELi4ELi3ELi3EEEJNS0_11LerpFunctorIS8_EEEEEvT_T0_DpT1_,comdat
	.globl	_ZN2at6native12_GLOBAL__N_125multi_tensor_apply_kernelINS1_18TensorListMetadataILi4EEENS1_20TernaryOpListFunctorIN3c107complexIdEELi4ELi3ELi3EEEJNS0_11LerpFunctorIS8_EEEEEvT_T0_DpT1_ ; -- Begin function _ZN2at6native12_GLOBAL__N_125multi_tensor_apply_kernelINS1_18TensorListMetadataILi4EEENS1_20TernaryOpListFunctorIN3c107complexIdEELi4ELi3ELi3EEEJNS0_11LerpFunctorIS8_EEEEEvT_T0_DpT1_
	.p2align	8
	.type	_ZN2at6native12_GLOBAL__N_125multi_tensor_apply_kernelINS1_18TensorListMetadataILi4EEENS1_20TernaryOpListFunctorIN3c107complexIdEELi4ELi3ELi3EEEJNS0_11LerpFunctorIS8_EEEEEvT_T0_DpT1_,@function
_ZN2at6native12_GLOBAL__N_125multi_tensor_apply_kernelINS1_18TensorListMetadataILi4EEENS1_20TernaryOpListFunctorIN3c107complexIdEELi4ELi3ELi3EEEJNS0_11LerpFunctorIS8_EEEEEvT_T0_DpT1_: ; @_ZN2at6native12_GLOBAL__N_125multi_tensor_apply_kernelINS1_18TensorListMetadataILi4EEENS1_20TernaryOpListFunctorIN3c107complexIdEELi4ELi3ELi3EEEJNS0_11LerpFunctorIS8_EEEEEvT_T0_DpT1_
; %bb.0:
	v_mov_b32_e32 v1, s6
	global_load_ubyte v1, v1, s[4:5] offset:1440
	s_add_u32 s0, s4, s6
	s_mul_hi_u32 s1, s6, 3
	s_mul_i32 s6, s6, 3
	s_addc_u32 s2, s5, 0
	s_add_u32 s0, s0, s6
	s_addc_u32 s1, s2, s1
	s_load_dword s0, s[0:1], 0x6e0
	s_mov_b32 s3, 0
	s_mov_b32 s7, s3
	s_waitcnt vmcnt(0)
	v_readfirstlane_b32 s1, v1
	s_lshl_b32 s2, s1, 3
	s_load_dwordx2 s[16:17], s[4:5], s2 offset:0x480
	s_waitcnt lgkmcnt(0)
	s_ashr_i32 s1, s0, 31
	s_load_dwordx2 s[8:9], s[4:5], s2 offset:0x0
	s_load_dwordx2 s[10:11], s[4:5], s2 offset:0x120
	;; [unrolled: 1-line block ×4, first 2 shown]
	s_lshl_b64 s[18:19], s[0:1], 20
	s_waitcnt lgkmcnt(0)
	s_add_u32 s8, s8, s18
	s_addc_u32 s9, s9, s19
	s_add_u32 s10, s10, s18
	s_addc_u32 s11, s11, s19
	s_and_b32 s2, s10, 63
	s_add_u32 s12, s12, s18
	s_addc_u32 s13, s13, s19
	s_add_u32 s14, s14, s18
	s_addc_u32 s15, s15, s19
	s_or_b32 s6, s14, s12
	s_and_b32 s6, s6, 63
	s_cmp_lg_u32 s6, 0
	s_cselect_b64 s[18:19], -1, 0
	s_lshl_b64 s[0:1], s[0:1], 16
	s_and_b32 s6, s8, 63
	s_cmp_lg_u64 s[2:3], 0
	s_cselect_b64 s[20:21], -1, 0
	s_or_b64 s[18:19], s[18:19], s[20:21]
	s_sub_u32 s0, s16, s0
	s_subb_u32 s1, s17, s1
	s_and_b32 s2, s16, 3
	s_or_b64 s[2:3], s[6:7], s[2:3]
	s_cmp_lg_u64 s[2:3], 0
	s_cselect_b64 s[2:3], -1, 0
	s_or_b64 s[2:3], s[18:19], s[2:3]
	s_andn2_b64 vcc, exec, s[2:3]
	s_mov_b64 s[2:3], -1
	s_cbranch_vccz .LBB2_21
; %bb.1:
	v_mov_b32_e32 v1, 0x10000
	v_mov_b32_e32 v2, 0
	v_cmp_lt_i64_e32 vcc, s[0:1], v[1:2]
	v_mov_b32_e32 v2, 0
	s_and_b64 s[2:3], vcc, exec
	s_cselect_b32 s3, s1, 0
	s_cselect_b32 s2, s0, 0x10000
	v_lshlrev_b32_e32 v1, 2, v0
	v_cmp_gt_i64_e32 vcc, s[2:3], v[1:2]
	s_and_saveexec_b64 s[6:7], vcc
	s_cbranch_execz .LBB2_20
; %bb.2:
	s_load_dword s18, s[4:5], 0xbfc
	v_mov_b32_e32 v1, v2
	v_mov_b32_e32 v54, v1
	v_lshlrev_b32_e32 v59, 6, v0
	s_mov_b64 s[16:17], 0
	s_waitcnt lgkmcnt(0)
	s_and_b32 s30, s18, 0xffff
	s_mov_b32 s18, 0
	s_lshl_b32 s31, s30, 6
	s_mov_b32 s19, 0x3fd00000
	s_mov_b64 s[20:21], s[10:11]
	s_mov_b64 s[22:23], s[12:13]
	;; [unrolled: 1-line block ×4, first 2 shown]
	v_mov_b32_e32 v53, v0
	s_branch .LBB2_4
.LBB2_3:                                ;   in Loop: Header=BB2_4 Depth=1
	s_or_b64 exec, exec, s[28:29]
	v_mov_b32_e32 v2, s27
	v_add_co_u32_e32 v1, vcc, s26, v59
	s_add_u32 s26, s26, s31
	v_addc_co_u32_e32 v2, vcc, 0, v2, vcc
	s_addc_u32 s27, s27, 0
	v_add_co_u32_e32 v53, vcc, s30, v53
	s_add_u32 s24, s24, s31
	v_addc_co_u32_e32 v54, vcc, 0, v54, vcc
	s_addc_u32 s25, s25, 0
	v_lshlrev_b64 v[3:4], 2, v[53:54]
	s_add_u32 s22, s22, s31
	s_addc_u32 s23, s23, 0
	s_add_u32 s20, s20, s31
	v_cmp_le_i64_e32 vcc, s[2:3], v[3:4]
	s_addc_u32 s21, s21, 0
	s_or_b64 s[16:17], vcc, s[16:17]
	global_store_dwordx4 v[1:2], v[9:12], off
	global_store_dwordx4 v[1:2], v[17:20], off offset:16
	global_store_dwordx4 v[1:2], v[33:36], off offset:32
	global_store_dwordx4 v[1:2], v[21:24], off offset:48
	s_andn2_b64 exec, exec, s[16:17]
	s_cbranch_execz .LBB2_20
.LBB2_4:                                ; =>This Inner Loop Header: Depth=1
	v_mov_b32_e32 v1, s23
	v_add_co_u32_e32 v9, vcc, s22, v59
	v_addc_co_u32_e32 v10, vcc, 0, v1, vcc
	global_load_dwordx4 v[17:20], v[9:10], off
	v_mov_b32_e32 v1, s25
	v_add_co_u32_e32 v11, vcc, s24, v59
	v_addc_co_u32_e32 v12, vcc, 0, v1, vcc
	v_mov_b32_e32 v2, s21
	v_add_co_u32_e32 v55, vcc, s20, v59
	v_addc_co_u32_e32 v56, vcc, 0, v2, vcc
	global_load_dwordx4 v[45:48], v[11:12], off
	global_load_dwordx4 v[49:52], v[55:56], off
	global_load_dwordx4 v[33:36], v[9:10], off offset:16
	global_load_dwordx4 v[37:40], v[11:12], off offset:16
	;; [unrolled: 1-line block ×9, first 2 shown]
	s_waitcnt vmcnt(11)
	v_mul_f64 v[9:10], v[19:20], v[19:20]
	s_waitcnt vmcnt(9)
	v_add_f64 v[57:58], v[49:50], -v[45:46]
	v_add_f64 v[55:56], v[51:52], -v[47:48]
	v_fma_f64 v[9:10], v[17:18], v[17:18], v[9:10]
	v_cmp_ngt_f64_e32 vcc, s[18:19], v[9:10]
                                        ; implicit-def: $vgpr11_vgpr12
	s_and_saveexec_b64 s[28:29], vcc
	s_xor_b64 s[28:29], exec, s[28:29]
	s_cbranch_execz .LBB2_6
; %bb.5:                                ;   in Loop: Header=BB2_4 Depth=1
	v_add_f64 v[9:10], -v[19:20], 0
	v_add_f64 v[11:12], -v[17:18], 1.0
                                        ; implicit-def: $vgpr45_vgpr46
	v_mul_f64 v[17:18], v[55:56], v[9:10]
	v_mul_f64 v[9:10], v[57:58], v[9:10]
	v_fma_f64 v[17:18], v[57:58], v[11:12], -v[17:18]
	v_fma_f64 v[11:12], v[55:56], v[11:12], v[9:10]
                                        ; implicit-def: $vgpr55_vgpr56
                                        ; implicit-def: $vgpr57_vgpr58
	v_add_f64 v[9:10], v[49:50], -v[17:18]
	v_add_f64 v[11:12], v[51:52], -v[11:12]
                                        ; implicit-def: $vgpr19_vgpr20
.LBB2_6:                                ;   in Loop: Header=BB2_4 Depth=1
	s_andn2_saveexec_b64 s[28:29], s[28:29]
	s_cbranch_execz .LBB2_8
; %bb.7:                                ;   in Loop: Header=BB2_4 Depth=1
	v_mul_f64 v[9:10], v[55:56], v[19:20]
	v_mul_f64 v[11:12], v[57:58], v[19:20]
	v_fma_f64 v[9:10], v[57:58], v[17:18], -v[9:10]
	v_fma_f64 v[11:12], v[55:56], v[17:18], v[11:12]
	v_add_f64 v[9:10], v[45:46], v[9:10]
	v_add_f64 v[11:12], v[47:48], v[11:12]
.LBB2_8:                                ;   in Loop: Header=BB2_4 Depth=1
	s_or_b64 exec, exec, s[28:29]
	s_waitcnt vmcnt(8)
	v_mul_f64 v[17:18], v[35:36], v[35:36]
	s_waitcnt vmcnt(6)
	v_add_f64 v[47:48], v[41:42], -v[37:38]
	v_add_f64 v[45:46], v[43:44], -v[39:40]
	v_fma_f64 v[17:18], v[33:34], v[33:34], v[17:18]
	v_cmp_ngt_f64_e32 vcc, s[18:19], v[17:18]
                                        ; implicit-def: $vgpr19_vgpr20
	s_and_saveexec_b64 s[28:29], vcc
	s_xor_b64 s[28:29], exec, s[28:29]
	s_cbranch_execz .LBB2_10
; %bb.9:                                ;   in Loop: Header=BB2_4 Depth=1
	v_add_f64 v[17:18], -v[35:36], 0
	v_add_f64 v[19:20], -v[33:34], 1.0
                                        ; implicit-def: $vgpr37_vgpr38
	v_mul_f64 v[33:34], v[45:46], v[17:18]
	v_mul_f64 v[17:18], v[47:48], v[17:18]
	v_fma_f64 v[33:34], v[47:48], v[19:20], -v[33:34]
	v_fma_f64 v[19:20], v[45:46], v[19:20], v[17:18]
                                        ; implicit-def: $vgpr45_vgpr46
                                        ; implicit-def: $vgpr47_vgpr48
	v_add_f64 v[17:18], v[41:42], -v[33:34]
	v_add_f64 v[19:20], v[43:44], -v[19:20]
                                        ; implicit-def: $vgpr35_vgpr36
.LBB2_10:                               ;   in Loop: Header=BB2_4 Depth=1
	s_andn2_saveexec_b64 s[28:29], s[28:29]
	s_cbranch_execz .LBB2_12
; %bb.11:                               ;   in Loop: Header=BB2_4 Depth=1
	v_mul_f64 v[17:18], v[45:46], v[35:36]
	v_mul_f64 v[19:20], v[47:48], v[35:36]
	v_fma_f64 v[17:18], v[47:48], v[33:34], -v[17:18]
	v_fma_f64 v[19:20], v[45:46], v[33:34], v[19:20]
	v_add_f64 v[17:18], v[37:38], v[17:18]
	v_add_f64 v[19:20], v[39:40], v[19:20]
.LBB2_12:                               ;   in Loop: Header=BB2_4 Depth=1
	s_or_b64 exec, exec, s[28:29]
	s_waitcnt vmcnt(0)
	v_mul_f64 v[33:34], v[23:24], v[23:24]
	v_add_f64 v[39:40], v[29:30], -v[25:26]
	v_add_f64 v[37:38], v[31:32], -v[27:28]
	v_fma_f64 v[33:34], v[21:22], v[21:22], v[33:34]
	v_cmp_ngt_f64_e32 vcc, s[18:19], v[33:34]
                                        ; implicit-def: $vgpr35_vgpr36
	s_and_saveexec_b64 s[28:29], vcc
	s_xor_b64 s[28:29], exec, s[28:29]
	s_cbranch_execz .LBB2_14
; %bb.13:                               ;   in Loop: Header=BB2_4 Depth=1
	v_add_f64 v[23:24], -v[23:24], 0
	v_add_f64 v[21:22], -v[21:22], 1.0
	v_mul_f64 v[25:26], v[37:38], v[23:24]
	v_mul_f64 v[23:24], v[39:40], v[23:24]
	v_fma_f64 v[25:26], v[39:40], v[21:22], -v[25:26]
	v_fma_f64 v[21:22], v[37:38], v[21:22], v[23:24]
                                        ; implicit-def: $vgpr37_vgpr38
                                        ; implicit-def: $vgpr39_vgpr40
	v_add_f64 v[33:34], v[29:30], -v[25:26]
	v_add_f64 v[35:36], v[31:32], -v[21:22]
                                        ; implicit-def: $vgpr23_vgpr24
                                        ; implicit-def: $vgpr25_vgpr26
.LBB2_14:                               ;   in Loop: Header=BB2_4 Depth=1
	s_andn2_saveexec_b64 s[28:29], s[28:29]
	s_cbranch_execz .LBB2_16
; %bb.15:                               ;   in Loop: Header=BB2_4 Depth=1
	v_mul_f64 v[29:30], v[37:38], v[23:24]
	v_mul_f64 v[23:24], v[39:40], v[23:24]
	v_fma_f64 v[29:30], v[39:40], v[21:22], -v[29:30]
	v_fma_f64 v[21:22], v[37:38], v[21:22], v[23:24]
	v_add_f64 v[33:34], v[25:26], v[29:30]
	v_add_f64 v[35:36], v[27:28], v[21:22]
.LBB2_16:                               ;   in Loop: Header=BB2_4 Depth=1
	s_or_b64 exec, exec, s[28:29]
	v_mul_f64 v[21:22], v[3:4], v[3:4]
	v_add_f64 v[27:28], v[13:14], -v[5:6]
	v_add_f64 v[25:26], v[15:16], -v[7:8]
	v_fma_f64 v[21:22], v[1:2], v[1:2], v[21:22]
	v_cmp_ngt_f64_e32 vcc, s[18:19], v[21:22]
                                        ; implicit-def: $vgpr23_vgpr24
	s_and_saveexec_b64 s[28:29], vcc
	s_xor_b64 s[28:29], exec, s[28:29]
	s_cbranch_execz .LBB2_18
; %bb.17:                               ;   in Loop: Header=BB2_4 Depth=1
	v_add_f64 v[3:4], -v[3:4], 0
	v_add_f64 v[1:2], -v[1:2], 1.0
	v_mul_f64 v[5:6], v[25:26], v[3:4]
	v_mul_f64 v[3:4], v[27:28], v[3:4]
	v_fma_f64 v[5:6], v[27:28], v[1:2], -v[5:6]
	v_fma_f64 v[1:2], v[25:26], v[1:2], v[3:4]
                                        ; implicit-def: $vgpr25_vgpr26
                                        ; implicit-def: $vgpr27_vgpr28
	v_add_f64 v[21:22], v[13:14], -v[5:6]
	v_add_f64 v[23:24], v[15:16], -v[1:2]
                                        ; implicit-def: $vgpr3_vgpr4
                                        ; implicit-def: $vgpr5_vgpr6
.LBB2_18:                               ;   in Loop: Header=BB2_4 Depth=1
	s_andn2_saveexec_b64 s[28:29], s[28:29]
	s_cbranch_execz .LBB2_3
; %bb.19:                               ;   in Loop: Header=BB2_4 Depth=1
	v_mul_f64 v[13:14], v[25:26], v[3:4]
	v_mul_f64 v[3:4], v[27:28], v[3:4]
	v_fma_f64 v[13:14], v[27:28], v[1:2], -v[13:14]
	v_fma_f64 v[1:2], v[25:26], v[1:2], v[3:4]
	v_add_f64 v[21:22], v[5:6], v[13:14]
	v_add_f64 v[23:24], v[7:8], v[1:2]
	s_branch .LBB2_3
.LBB2_20:
	s_or_b64 exec, exec, s[6:7]
	s_mov_b64 s[2:3], 0
.LBB2_21:
	s_andn2_b64 vcc, exec, s[2:3]
	s_cbranch_vccnz .LBB2_65
; %bb.22:
	v_cmp_lt_i64_e64 s[2:3], s[0:1], 1
	s_and_b64 vcc, exec, s[2:3]
	s_cbranch_vccnz .LBB2_65
; %bb.23:
	v_mov_b32_e32 v1, 0x10000
	s_load_dword s4, s[4:5], 0xbfc
	v_mov_b32_e32 v2, 0
	v_cmp_lt_i64_e32 vcc, s[0:1], v[1:2]
	s_mov_b32 s20, 0
	s_and_b64 s[2:3], vcc, exec
	v_cmp_lt_u64_e32 vcc, s[0:1], v[1:2]
	s_cselect_b32 s17, s1, 0
	s_cselect_b32 s16, s0, 0x10000
	s_waitcnt lgkmcnt(0)
	s_and_b32 s26, s4, 0xffff
	s_and_b64 s[2:3], vcc, exec
	s_cselect_b32 s19, s1, 0
	s_cselect_b32 s18, s0, 0x10000
	s_lshl_b32 s27, s26, 1
	s_mul_i32 s28, s26, 3
	s_lshl_b32 s29, s26, 2
	s_mov_b32 s21, 0x3fd00000
	s_mov_b64 s[22:23], 0
	s_branch .LBB2_25
.LBB2_24:                               ;   in Loop: Header=BB2_25 Depth=1
	s_or_b64 exec, exec, s[0:1]
	s_add_u32 s22, s22, s29
	v_mov_b32_e32 v1, s16
	s_addc_u32 s23, s23, 0
	v_mov_b32_e32 v2, s17
	v_cmp_ge_i64_e32 vcc, s[22:23], v[1:2]
	s_cbranch_vccnz .LBB2_65
.LBB2_25:                               ; =>This Inner Loop Header: Depth=1
	v_mov_b32_e32 v1, s23
	v_add_co_u32_e32 v53, vcc, s22, v0
	v_addc_co_u32_e32 v54, vcc, 0, v1, vcc
	v_cmp_gt_u64_e32 vcc, s[18:19], v[53:54]
	v_mov_b32_e32 v3, 0
	v_mov_b32_e32 v23, 0
	;; [unrolled: 1-line block ×10, first 2 shown]
	s_and_saveexec_b64 s[2:3], vcc
	s_cbranch_execz .LBB2_27
; %bb.26:                               ;   in Loop: Header=BB2_25 Depth=1
	v_lshlrev_b64 v[1:2], 4, v[53:54]
	v_mov_b32_e32 v6, s11
	v_add_co_u32_e64 v5, s[0:1], s10, v1
	v_addc_co_u32_e64 v6, s[0:1], v6, v2, s[0:1]
	v_mov_b32_e32 v7, s9
	v_add_co_u32_e64 v1, s[0:1], s8, v1
	v_addc_co_u32_e64 v2, s[0:1], v7, v2, s[0:1]
	global_load_dwordx4 v[9:12], v[1:2], off
	global_load_dwordx4 v[21:24], v[5:6], off
.LBB2_27:                               ;   in Loop: Header=BB2_25 Depth=1
	s_or_b64 exec, exec, s[2:3]
	v_mov_b32_e32 v1, 0
	v_mov_b32_e32 v2, 0
	s_and_saveexec_b64 s[2:3], vcc
	s_cbranch_execz .LBB2_29
; %bb.28:                               ;   in Loop: Header=BB2_25 Depth=1
	v_lshlrev_b64 v[1:2], 4, v[53:54]
	v_mov_b32_e32 v3, s13
	v_add_co_u32_e64 v1, s[0:1], s12, v1
	v_addc_co_u32_e64 v2, s[0:1], v3, v2, s[0:1]
	global_load_dwordx4 v[1:4], v[1:2], off
.LBB2_29:                               ;   in Loop: Header=BB2_25 Depth=1
	s_or_b64 exec, exec, s[2:3]
	v_add_co_u32_e64 v55, s[0:1], s26, v53
	v_addc_co_u32_e64 v56, s[0:1], 0, v54, s[0:1]
	v_cmp_gt_u64_e64 s[0:1], s[18:19], v[55:56]
	v_mov_b32_e32 v7, 0
	v_mov_b32_e32 v35, 0
	v_mov_b32_e32 v33, 0
	v_mov_b32_e32 v15, 0
	v_mov_b32_e32 v13, 0
	v_mov_b32_e32 v8, 0
	v_mov_b32_e32 v36, 0
	v_mov_b32_e32 v34, 0
	v_mov_b32_e32 v16, 0
	v_mov_b32_e32 v14, 0
	s_and_saveexec_b64 s[4:5], s[0:1]
	s_cbranch_execz .LBB2_31
; %bb.30:                               ;   in Loop: Header=BB2_25 Depth=1
	v_lshlrev_b64 v[5:6], 4, v[55:56]
	v_mov_b32_e32 v13, s11
	v_add_co_u32_e64 v17, s[2:3], s10, v5
	v_addc_co_u32_e64 v18, s[2:3], v13, v6, s[2:3]
	v_mov_b32_e32 v13, s9
	v_add_co_u32_e64 v5, s[2:3], s8, v5
	v_addc_co_u32_e64 v6, s[2:3], v13, v6, s[2:3]
	global_load_dwordx4 v[13:16], v[5:6], off
	global_load_dwordx4 v[33:36], v[17:18], off
.LBB2_31:                               ;   in Loop: Header=BB2_25 Depth=1
	s_or_b64 exec, exec, s[4:5]
	v_mov_b32_e32 v5, 0
	v_mov_b32_e32 v6, 0
	s_and_saveexec_b64 s[4:5], s[0:1]
	s_cbranch_execz .LBB2_33
; %bb.32:                               ;   in Loop: Header=BB2_25 Depth=1
	v_lshlrev_b64 v[5:6], 4, v[55:56]
	v_mov_b32_e32 v7, s13
	v_add_co_u32_e64 v5, s[2:3], s12, v5
	v_addc_co_u32_e64 v6, s[2:3], v7, v6, s[2:3]
	global_load_dwordx4 v[5:8], v[5:6], off
.LBB2_33:                               ;   in Loop: Header=BB2_25 Depth=1
	s_or_b64 exec, exec, s[4:5]
	v_add_co_u32_e64 v57, s[2:3], s27, v53
	v_addc_co_u32_e64 v58, s[2:3], 0, v54, s[2:3]
	v_cmp_gt_u64_e64 s[2:3], s[18:19], v[57:58]
	v_mov_b32_e32 v19, 0
	v_mov_b32_e32 v43, 0
	v_mov_b32_e32 v41, 0
	v_mov_b32_e32 v27, 0
	v_mov_b32_e32 v25, 0
	v_mov_b32_e32 v20, 0
	v_mov_b32_e32 v44, 0
	v_mov_b32_e32 v42, 0
	v_mov_b32_e32 v28, 0
	v_mov_b32_e32 v26, 0
	s_and_saveexec_b64 s[6:7], s[2:3]
	s_cbranch_execz .LBB2_35
; %bb.34:                               ;   in Loop: Header=BB2_25 Depth=1
	v_lshlrev_b64 v[17:18], 4, v[57:58]
	v_mov_b32_e32 v25, s11
	v_add_co_u32_e64 v29, s[4:5], s10, v17
	v_addc_co_u32_e64 v30, s[4:5], v25, v18, s[4:5]
	v_mov_b32_e32 v25, s9
	v_add_co_u32_e64 v17, s[4:5], s8, v17
	v_addc_co_u32_e64 v18, s[4:5], v25, v18, s[4:5]
	global_load_dwordx4 v[25:28], v[17:18], off
	global_load_dwordx4 v[41:44], v[29:30], off
.LBB2_35:                               ;   in Loop: Header=BB2_25 Depth=1
	s_or_b64 exec, exec, s[6:7]
	v_mov_b32_e32 v17, 0
	v_mov_b32_e32 v18, 0
	s_and_saveexec_b64 s[6:7], s[2:3]
	;; [unrolled: 39-line block ×3, first 2 shown]
	s_cbranch_execz .LBB2_41
; %bb.40:                               ;   in Loop: Header=BB2_25 Depth=1
	v_lshlrev_b64 v[29:30], 4, v[59:60]
	v_mov_b32_e32 v31, s13
	v_add_co_u32_e64 v29, s[6:7], s12, v29
	v_addc_co_u32_e64 v30, s[6:7], v31, v30, s[6:7]
	global_load_dwordx4 v[29:32], v[29:30], off
.LBB2_41:                               ;   in Loop: Header=BB2_25 Depth=1
	s_or_b64 exec, exec, s[24:25]
	s_waitcnt vmcnt(0)
	v_mul_f64 v[49:50], v[1:2], v[1:2]
	v_add_f64 v[61:62], v[21:22], -v[9:10]
	v_add_f64 v[63:64], v[23:24], -v[11:12]
	v_fma_f64 v[49:50], v[3:4], v[3:4], v[49:50]
	v_cmp_ngt_f64_e64 s[6:7], s[20:21], v[49:50]
                                        ; implicit-def: $vgpr51_vgpr52
	s_and_saveexec_b64 s[24:25], s[6:7]
	s_xor_b64 s[6:7], exec, s[24:25]
	s_cbranch_execz .LBB2_43
; %bb.42:                               ;   in Loop: Header=BB2_25 Depth=1
	v_add_f64 v[3:4], -v[3:4], 0
	v_add_f64 v[1:2], -v[1:2], 1.0
	v_mul_f64 v[9:10], v[63:64], v[3:4]
	v_mul_f64 v[11:12], v[63:64], v[1:2]
                                        ; implicit-def: $vgpr63_vgpr64
	v_fma_f64 v[1:2], v[61:62], v[1:2], -v[9:10]
	v_fma_f64 v[3:4], v[61:62], v[3:4], v[11:12]
                                        ; implicit-def: $vgpr61_vgpr62
                                        ; implicit-def: $vgpr9_vgpr10
	v_add_f64 v[49:50], v[21:22], -v[1:2]
	v_add_f64 v[51:52], v[23:24], -v[3:4]
                                        ; implicit-def: $vgpr3_vgpr4
.LBB2_43:                               ;   in Loop: Header=BB2_25 Depth=1
	s_andn2_saveexec_b64 s[6:7], s[6:7]
	s_cbranch_execz .LBB2_45
; %bb.44:                               ;   in Loop: Header=BB2_25 Depth=1
	v_mul_f64 v[21:22], v[63:64], v[3:4]
	v_mul_f64 v[23:24], v[63:64], v[1:2]
	v_fma_f64 v[1:2], v[61:62], v[1:2], -v[21:22]
	v_fma_f64 v[3:4], v[61:62], v[3:4], v[23:24]
	v_add_f64 v[49:50], v[9:10], v[1:2]
	v_add_f64 v[51:52], v[11:12], v[3:4]
.LBB2_45:                               ;   in Loop: Header=BB2_25 Depth=1
	s_or_b64 exec, exec, s[6:7]
	v_mul_f64 v[1:2], v[5:6], v[5:6]
	v_add_f64 v[9:10], v[33:34], -v[13:14]
	v_add_f64 v[11:12], v[35:36], -v[15:16]
	v_fma_f64 v[1:2], v[7:8], v[7:8], v[1:2]
	v_cmp_ngt_f64_e64 s[6:7], s[20:21], v[1:2]
                                        ; implicit-def: $vgpr3_vgpr4
	s_and_saveexec_b64 s[24:25], s[6:7]
	s_xor_b64 s[6:7], exec, s[24:25]
	s_cbranch_execz .LBB2_47
; %bb.46:                               ;   in Loop: Header=BB2_25 Depth=1
	v_add_f64 v[1:2], -v[7:8], 0
	v_add_f64 v[3:4], -v[5:6], 1.0
                                        ; implicit-def: $vgpr13_vgpr14
	v_mul_f64 v[5:6], v[11:12], v[1:2]
	v_mul_f64 v[7:8], v[11:12], v[3:4]
                                        ; implicit-def: $vgpr11_vgpr12
	v_fma_f64 v[3:4], v[9:10], v[3:4], -v[5:6]
	v_fma_f64 v[5:6], v[9:10], v[1:2], v[7:8]
                                        ; implicit-def: $vgpr9_vgpr10
	v_add_f64 v[1:2], v[33:34], -v[3:4]
	v_add_f64 v[3:4], v[35:36], -v[5:6]
                                        ; implicit-def: $vgpr7_vgpr8
.LBB2_47:                               ;   in Loop: Header=BB2_25 Depth=1
	s_andn2_saveexec_b64 s[6:7], s[6:7]
	s_cbranch_execz .LBB2_49
; %bb.48:                               ;   in Loop: Header=BB2_25 Depth=1
	v_mul_f64 v[1:2], v[11:12], v[7:8]
	v_mul_f64 v[3:4], v[11:12], v[5:6]
	v_fma_f64 v[1:2], v[9:10], v[5:6], -v[1:2]
	v_fma_f64 v[3:4], v[9:10], v[7:8], v[3:4]
	v_add_f64 v[1:2], v[13:14], v[1:2]
	v_add_f64 v[3:4], v[15:16], v[3:4]
.LBB2_49:                               ;   in Loop: Header=BB2_25 Depth=1
	s_or_b64 exec, exec, s[6:7]
	v_mul_f64 v[5:6], v[17:18], v[17:18]
	v_add_f64 v[9:10], v[41:42], -v[25:26]
	v_add_f64 v[11:12], v[43:44], -v[27:28]
	v_fma_f64 v[5:6], v[19:20], v[19:20], v[5:6]
	v_cmp_ngt_f64_e64 s[6:7], s[20:21], v[5:6]
                                        ; implicit-def: $vgpr7_vgpr8
	s_and_saveexec_b64 s[24:25], s[6:7]
	s_xor_b64 s[6:7], exec, s[24:25]
	s_cbranch_execz .LBB2_51
; %bb.50:                               ;   in Loop: Header=BB2_25 Depth=1
	v_add_f64 v[5:6], -v[19:20], 0
	v_add_f64 v[7:8], -v[17:18], 1.0
                                        ; implicit-def: $vgpr19_vgpr20
                                        ; implicit-def: $vgpr25_vgpr26
	v_mul_f64 v[13:14], v[11:12], v[5:6]
	v_mul_f64 v[11:12], v[11:12], v[7:8]
	v_fma_f64 v[7:8], v[9:10], v[7:8], -v[13:14]
	v_fma_f64 v[9:10], v[9:10], v[5:6], v[11:12]
                                        ; implicit-def: $vgpr11_vgpr12
	v_add_f64 v[5:6], v[41:42], -v[7:8]
	v_add_f64 v[7:8], v[43:44], -v[9:10]
                                        ; implicit-def: $vgpr9_vgpr10
.LBB2_51:                               ;   in Loop: Header=BB2_25 Depth=1
	s_andn2_saveexec_b64 s[6:7], s[6:7]
	s_cbranch_execz .LBB2_53
; %bb.52:                               ;   in Loop: Header=BB2_25 Depth=1
	v_mul_f64 v[5:6], v[11:12], v[19:20]
	v_mul_f64 v[7:8], v[11:12], v[17:18]
	v_fma_f64 v[5:6], v[9:10], v[17:18], -v[5:6]
	v_fma_f64 v[7:8], v[9:10], v[19:20], v[7:8]
	v_add_f64 v[5:6], v[25:26], v[5:6]
	v_add_f64 v[7:8], v[27:28], v[7:8]
.LBB2_53:                               ;   in Loop: Header=BB2_25 Depth=1
	s_or_b64 exec, exec, s[6:7]
	v_mul_f64 v[9:10], v[29:30], v[29:30]
	v_add_f64 v[13:14], v[45:46], -v[37:38]
	v_add_f64 v[15:16], v[47:48], -v[39:40]
	v_fma_f64 v[9:10], v[31:32], v[31:32], v[9:10]
	v_cmp_ngt_f64_e64 s[6:7], s[20:21], v[9:10]
                                        ; implicit-def: $vgpr11_vgpr12
	s_and_saveexec_b64 s[24:25], s[6:7]
	s_xor_b64 s[6:7], exec, s[24:25]
	s_cbranch_execnz .LBB2_59
; %bb.54:                               ;   in Loop: Header=BB2_25 Depth=1
	s_andn2_saveexec_b64 s[6:7], s[6:7]
	s_cbranch_execnz .LBB2_60
.LBB2_55:                               ;   in Loop: Header=BB2_25 Depth=1
	s_or_b64 exec, exec, s[6:7]
	s_and_saveexec_b64 s[6:7], vcc
	s_xor_b64 s[6:7], exec, s[6:7]
	s_cbranch_execnz .LBB2_61
.LBB2_56:                               ;   in Loop: Header=BB2_25 Depth=1
	s_or_b64 exec, exec, s[6:7]
	s_and_saveexec_b64 s[6:7], s[0:1]
	s_cbranch_execnz .LBB2_62
.LBB2_57:                               ;   in Loop: Header=BB2_25 Depth=1
	s_or_b64 exec, exec, s[6:7]
	s_and_saveexec_b64 s[0:1], s[2:3]
	s_cbranch_execnz .LBB2_63
.LBB2_58:                               ;   in Loop: Header=BB2_25 Depth=1
	s_or_b64 exec, exec, s[0:1]
	s_and_saveexec_b64 s[0:1], s[4:5]
	s_cbranch_execz .LBB2_24
	s_branch .LBB2_64
.LBB2_59:                               ;   in Loop: Header=BB2_25 Depth=1
	v_add_f64 v[9:10], -v[31:32], 0
	v_add_f64 v[11:12], -v[29:30], 1.0
                                        ; implicit-def: $vgpr31_vgpr32
                                        ; implicit-def: $vgpr37_vgpr38
	v_mul_f64 v[17:18], v[15:16], v[9:10]
	v_mul_f64 v[15:16], v[15:16], v[11:12]
	v_fma_f64 v[11:12], v[13:14], v[11:12], -v[17:18]
	v_fma_f64 v[13:14], v[13:14], v[9:10], v[15:16]
                                        ; implicit-def: $vgpr15_vgpr16
	v_add_f64 v[9:10], v[45:46], -v[11:12]
	v_add_f64 v[11:12], v[47:48], -v[13:14]
                                        ; implicit-def: $vgpr13_vgpr14
	s_andn2_saveexec_b64 s[6:7], s[6:7]
	s_cbranch_execz .LBB2_55
.LBB2_60:                               ;   in Loop: Header=BB2_25 Depth=1
	v_mul_f64 v[9:10], v[15:16], v[31:32]
	v_mul_f64 v[11:12], v[15:16], v[29:30]
	v_fma_f64 v[9:10], v[13:14], v[29:30], -v[9:10]
	v_fma_f64 v[11:12], v[13:14], v[31:32], v[11:12]
	v_add_f64 v[9:10], v[37:38], v[9:10]
	v_add_f64 v[11:12], v[39:40], v[11:12]
	s_or_b64 exec, exec, s[6:7]
	s_and_saveexec_b64 s[6:7], vcc
	s_xor_b64 s[6:7], exec, s[6:7]
	s_cbranch_execz .LBB2_56
.LBB2_61:                               ;   in Loop: Header=BB2_25 Depth=1
	v_lshlrev_b64 v[13:14], 4, v[53:54]
	v_mov_b32_e32 v15, s15
	v_add_co_u32_e32 v13, vcc, s14, v13
	v_addc_co_u32_e32 v14, vcc, v15, v14, vcc
	global_store_dwordx4 v[13:14], v[49:52], off
	s_or_b64 exec, exec, s[6:7]
	s_and_saveexec_b64 s[6:7], s[0:1]
	s_cbranch_execz .LBB2_57
.LBB2_62:                               ;   in Loop: Header=BB2_25 Depth=1
	v_lshlrev_b64 v[13:14], 4, v[55:56]
	v_mov_b32_e32 v15, s15
	v_add_co_u32_e32 v13, vcc, s14, v13
	v_addc_co_u32_e32 v14, vcc, v15, v14, vcc
	global_store_dwordx4 v[13:14], v[1:4], off
	s_or_b64 exec, exec, s[6:7]
	s_and_saveexec_b64 s[0:1], s[2:3]
	s_cbranch_execz .LBB2_58
.LBB2_63:                               ;   in Loop: Header=BB2_25 Depth=1
	v_lshlrev_b64 v[1:2], 4, v[57:58]
	v_mov_b32_e32 v3, s15
	v_add_co_u32_e32 v1, vcc, s14, v1
	v_addc_co_u32_e32 v2, vcc, v3, v2, vcc
	global_store_dwordx4 v[1:2], v[5:8], off
	s_or_b64 exec, exec, s[0:1]
	s_and_saveexec_b64 s[0:1], s[4:5]
	s_cbranch_execz .LBB2_24
.LBB2_64:                               ;   in Loop: Header=BB2_25 Depth=1
	v_lshlrev_b64 v[1:2], 4, v[59:60]
	v_mov_b32_e32 v3, s15
	v_add_co_u32_e32 v1, vcc, s14, v1
	v_addc_co_u32_e32 v2, vcc, v3, v2, vcc
	global_store_dwordx4 v[1:2], v[9:12], off
	s_branch .LBB2_24
.LBB2_65:
	s_endpgm
	.section	.rodata,"a",@progbits
	.p2align	6, 0x0
	.amdhsa_kernel _ZN2at6native12_GLOBAL__N_125multi_tensor_apply_kernelINS1_18TensorListMetadataILi4EEENS1_20TernaryOpListFunctorIN3c107complexIdEELi4ELi3ELi3EEEJNS0_11LerpFunctorIS8_EEEEEvT_T0_DpT1_
		.amdhsa_group_segment_fixed_size 0
		.amdhsa_private_segment_fixed_size 0
		.amdhsa_kernarg_size 3312
		.amdhsa_user_sgpr_count 6
		.amdhsa_user_sgpr_private_segment_buffer 1
		.amdhsa_user_sgpr_dispatch_ptr 0
		.amdhsa_user_sgpr_queue_ptr 0
		.amdhsa_user_sgpr_kernarg_segment_ptr 1
		.amdhsa_user_sgpr_dispatch_id 0
		.amdhsa_user_sgpr_flat_scratch_init 0
		.amdhsa_user_sgpr_private_segment_size 0
		.amdhsa_uses_dynamic_stack 0
		.amdhsa_system_sgpr_private_segment_wavefront_offset 0
		.amdhsa_system_sgpr_workgroup_id_x 1
		.amdhsa_system_sgpr_workgroup_id_y 0
		.amdhsa_system_sgpr_workgroup_id_z 0
		.amdhsa_system_sgpr_workgroup_info 0
		.amdhsa_system_vgpr_workitem_id 0
		.amdhsa_next_free_vgpr 65
		.amdhsa_next_free_sgpr 32
		.amdhsa_reserve_vcc 1
		.amdhsa_reserve_flat_scratch 0
		.amdhsa_float_round_mode_32 0
		.amdhsa_float_round_mode_16_64 0
		.amdhsa_float_denorm_mode_32 3
		.amdhsa_float_denorm_mode_16_64 3
		.amdhsa_dx10_clamp 1
		.amdhsa_ieee_mode 1
		.amdhsa_fp16_overflow 0
		.amdhsa_exception_fp_ieee_invalid_op 0
		.amdhsa_exception_fp_denorm_src 0
		.amdhsa_exception_fp_ieee_div_zero 0
		.amdhsa_exception_fp_ieee_overflow 0
		.amdhsa_exception_fp_ieee_underflow 0
		.amdhsa_exception_fp_ieee_inexact 0
		.amdhsa_exception_int_div_zero 0
	.end_amdhsa_kernel
	.section	.text._ZN2at6native12_GLOBAL__N_125multi_tensor_apply_kernelINS1_18TensorListMetadataILi4EEENS1_20TernaryOpListFunctorIN3c107complexIdEELi4ELi3ELi3EEEJNS0_11LerpFunctorIS8_EEEEEvT_T0_DpT1_,"axG",@progbits,_ZN2at6native12_GLOBAL__N_125multi_tensor_apply_kernelINS1_18TensorListMetadataILi4EEENS1_20TernaryOpListFunctorIN3c107complexIdEELi4ELi3ELi3EEEJNS0_11LerpFunctorIS8_EEEEEvT_T0_DpT1_,comdat
.Lfunc_end2:
	.size	_ZN2at6native12_GLOBAL__N_125multi_tensor_apply_kernelINS1_18TensorListMetadataILi4EEENS1_20TernaryOpListFunctorIN3c107complexIdEELi4ELi3ELi3EEEJNS0_11LerpFunctorIS8_EEEEEvT_T0_DpT1_, .Lfunc_end2-_ZN2at6native12_GLOBAL__N_125multi_tensor_apply_kernelINS1_18TensorListMetadataILi4EEENS1_20TernaryOpListFunctorIN3c107complexIdEELi4ELi3ELi3EEEJNS0_11LerpFunctorIS8_EEEEEvT_T0_DpT1_
                                        ; -- End function
	.set _ZN2at6native12_GLOBAL__N_125multi_tensor_apply_kernelINS1_18TensorListMetadataILi4EEENS1_20TernaryOpListFunctorIN3c107complexIdEELi4ELi3ELi3EEEJNS0_11LerpFunctorIS8_EEEEEvT_T0_DpT1_.num_vgpr, 65
	.set _ZN2at6native12_GLOBAL__N_125multi_tensor_apply_kernelINS1_18TensorListMetadataILi4EEENS1_20TernaryOpListFunctorIN3c107complexIdEELi4ELi3ELi3EEEJNS0_11LerpFunctorIS8_EEEEEvT_T0_DpT1_.num_agpr, 0
	.set _ZN2at6native12_GLOBAL__N_125multi_tensor_apply_kernelINS1_18TensorListMetadataILi4EEENS1_20TernaryOpListFunctorIN3c107complexIdEELi4ELi3ELi3EEEJNS0_11LerpFunctorIS8_EEEEEvT_T0_DpT1_.numbered_sgpr, 32
	.set _ZN2at6native12_GLOBAL__N_125multi_tensor_apply_kernelINS1_18TensorListMetadataILi4EEENS1_20TernaryOpListFunctorIN3c107complexIdEELi4ELi3ELi3EEEJNS0_11LerpFunctorIS8_EEEEEvT_T0_DpT1_.num_named_barrier, 0
	.set _ZN2at6native12_GLOBAL__N_125multi_tensor_apply_kernelINS1_18TensorListMetadataILi4EEENS1_20TernaryOpListFunctorIN3c107complexIdEELi4ELi3ELi3EEEJNS0_11LerpFunctorIS8_EEEEEvT_T0_DpT1_.private_seg_size, 0
	.set _ZN2at6native12_GLOBAL__N_125multi_tensor_apply_kernelINS1_18TensorListMetadataILi4EEENS1_20TernaryOpListFunctorIN3c107complexIdEELi4ELi3ELi3EEEJNS0_11LerpFunctorIS8_EEEEEvT_T0_DpT1_.uses_vcc, 1
	.set _ZN2at6native12_GLOBAL__N_125multi_tensor_apply_kernelINS1_18TensorListMetadataILi4EEENS1_20TernaryOpListFunctorIN3c107complexIdEELi4ELi3ELi3EEEJNS0_11LerpFunctorIS8_EEEEEvT_T0_DpT1_.uses_flat_scratch, 0
	.set _ZN2at6native12_GLOBAL__N_125multi_tensor_apply_kernelINS1_18TensorListMetadataILi4EEENS1_20TernaryOpListFunctorIN3c107complexIdEELi4ELi3ELi3EEEJNS0_11LerpFunctorIS8_EEEEEvT_T0_DpT1_.has_dyn_sized_stack, 0
	.set _ZN2at6native12_GLOBAL__N_125multi_tensor_apply_kernelINS1_18TensorListMetadataILi4EEENS1_20TernaryOpListFunctorIN3c107complexIdEELi4ELi3ELi3EEEJNS0_11LerpFunctorIS8_EEEEEvT_T0_DpT1_.has_recursion, 0
	.set _ZN2at6native12_GLOBAL__N_125multi_tensor_apply_kernelINS1_18TensorListMetadataILi4EEENS1_20TernaryOpListFunctorIN3c107complexIdEELi4ELi3ELi3EEEJNS0_11LerpFunctorIS8_EEEEEvT_T0_DpT1_.has_indirect_call, 0
	.section	.AMDGPU.csdata,"",@progbits
; Kernel info:
; codeLenInByte = 3192
; TotalNumSgprs: 36
; NumVgprs: 65
; ScratchSize: 0
; MemoryBound: 1
; FloatMode: 240
; IeeeMode: 1
; LDSByteSize: 0 bytes/workgroup (compile time only)
; SGPRBlocks: 4
; VGPRBlocks: 16
; NumSGPRsForWavesPerEU: 36
; NumVGPRsForWavesPerEU: 65
; Occupancy: 3
; WaveLimiterHint : 0
; COMPUTE_PGM_RSRC2:SCRATCH_EN: 0
; COMPUTE_PGM_RSRC2:USER_SGPR: 6
; COMPUTE_PGM_RSRC2:TRAP_HANDLER: 0
; COMPUTE_PGM_RSRC2:TGID_X_EN: 1
; COMPUTE_PGM_RSRC2:TGID_Y_EN: 0
; COMPUTE_PGM_RSRC2:TGID_Z_EN: 0
; COMPUTE_PGM_RSRC2:TIDIG_COMP_CNT: 0
	.section	.text._ZN2at6native12_GLOBAL__N_125multi_tensor_apply_kernelINS1_18TensorListMetadataILi4EEENS1_20TernaryOpListFunctorIN3c107complexIfEELi4ELi3ELi3EEEJNS0_11LerpFunctorIS8_EEEEEvT_T0_DpT1_,"axG",@progbits,_ZN2at6native12_GLOBAL__N_125multi_tensor_apply_kernelINS1_18TensorListMetadataILi4EEENS1_20TernaryOpListFunctorIN3c107complexIfEELi4ELi3ELi3EEEJNS0_11LerpFunctorIS8_EEEEEvT_T0_DpT1_,comdat
	.globl	_ZN2at6native12_GLOBAL__N_125multi_tensor_apply_kernelINS1_18TensorListMetadataILi4EEENS1_20TernaryOpListFunctorIN3c107complexIfEELi4ELi3ELi3EEEJNS0_11LerpFunctorIS8_EEEEEvT_T0_DpT1_ ; -- Begin function _ZN2at6native12_GLOBAL__N_125multi_tensor_apply_kernelINS1_18TensorListMetadataILi4EEENS1_20TernaryOpListFunctorIN3c107complexIfEELi4ELi3ELi3EEEJNS0_11LerpFunctorIS8_EEEEEvT_T0_DpT1_
	.p2align	8
	.type	_ZN2at6native12_GLOBAL__N_125multi_tensor_apply_kernelINS1_18TensorListMetadataILi4EEENS1_20TernaryOpListFunctorIN3c107complexIfEELi4ELi3ELi3EEEJNS0_11LerpFunctorIS8_EEEEEvT_T0_DpT1_,@function
_ZN2at6native12_GLOBAL__N_125multi_tensor_apply_kernelINS1_18TensorListMetadataILi4EEENS1_20TernaryOpListFunctorIN3c107complexIfEELi4ELi3ELi3EEEJNS0_11LerpFunctorIS8_EEEEEvT_T0_DpT1_: ; @_ZN2at6native12_GLOBAL__N_125multi_tensor_apply_kernelINS1_18TensorListMetadataILi4EEENS1_20TernaryOpListFunctorIN3c107complexIfEELi4ELi3ELi3EEEJNS0_11LerpFunctorIS8_EEEEEvT_T0_DpT1_
; %bb.0:
	v_mov_b32_e32 v1, s6
	global_load_ubyte v1, v1, s[4:5] offset:1440
	s_add_u32 s0, s4, s6
	s_mul_hi_u32 s1, s6, 3
	s_mul_i32 s6, s6, 3
	s_addc_u32 s2, s5, 0
	s_add_u32 s0, s0, s6
	s_addc_u32 s1, s2, s1
	s_load_dword s0, s[0:1], 0x6e0
	s_mov_b32 s3, 0
	s_mov_b32 s7, s3
	s_waitcnt vmcnt(0)
	v_readfirstlane_b32 s1, v1
	s_lshl_b32 s2, s1, 3
	s_load_dwordx2 s[16:17], s[4:5], s2 offset:0x480
	s_waitcnt lgkmcnt(0)
	s_ashr_i32 s1, s0, 31
	s_load_dwordx2 s[8:9], s[4:5], s2 offset:0x0
	s_load_dwordx2 s[10:11], s[4:5], s2 offset:0x120
	;; [unrolled: 1-line block ×4, first 2 shown]
	s_lshl_b64 s[18:19], s[0:1], 19
	s_waitcnt lgkmcnt(0)
	s_add_u32 s8, s8, s18
	s_addc_u32 s9, s9, s19
	s_add_u32 s10, s10, s18
	s_addc_u32 s11, s11, s19
	s_and_b32 s2, s10, 31
	s_add_u32 s12, s12, s18
	s_addc_u32 s13, s13, s19
	s_add_u32 s14, s14, s18
	s_addc_u32 s15, s15, s19
	s_or_b32 s6, s14, s12
	s_and_b32 s6, s6, 31
	s_cmp_lg_u32 s6, 0
	s_cselect_b64 s[18:19], -1, 0
	s_lshl_b64 s[0:1], s[0:1], 16
	s_and_b32 s6, s8, 31
	s_cmp_lg_u64 s[2:3], 0
	s_cselect_b64 s[20:21], -1, 0
	s_or_b64 s[18:19], s[18:19], s[20:21]
	s_sub_u32 s0, s16, s0
	s_subb_u32 s1, s17, s1
	s_and_b32 s2, s16, 3
	s_or_b64 s[2:3], s[6:7], s[2:3]
	s_cmp_lg_u64 s[2:3], 0
	s_cselect_b64 s[2:3], -1, 0
	s_or_b64 s[2:3], s[18:19], s[2:3]
	s_andn2_b64 vcc, exec, s[2:3]
	s_mov_b64 s[2:3], -1
	s_cbranch_vccz .LBB3_21
; %bb.1:
	v_mov_b32_e32 v1, 0x10000
	v_mov_b32_e32 v2, 0
	v_cmp_lt_i64_e32 vcc, s[0:1], v[1:2]
	v_mov_b32_e32 v2, 0
	s_and_b64 s[2:3], vcc, exec
	s_cselect_b32 s3, s1, 0
	s_cselect_b32 s2, s0, 0x10000
	v_lshlrev_b32_e32 v1, 2, v0
	v_cmp_gt_i64_e32 vcc, s[2:3], v[1:2]
	s_and_saveexec_b64 s[6:7], vcc
	s_cbranch_execz .LBB3_20
; %bb.2:
	s_load_dword s18, s[4:5], 0xbfc
	v_mov_b32_e32 v1, v2
	v_mov_b32_e32 v30, v1
	v_lshlrev_b32_e32 v31, 5, v0
	s_mov_b64 s[16:17], 0
	s_waitcnt lgkmcnt(0)
	s_and_b32 s29, s18, 0xffff
	s_mov_b32 s28, 0x3e800000
	s_lshl_b32 s30, s29, 5
	s_mov_b64 s[18:19], s[10:11]
	s_mov_b64 s[20:21], s[12:13]
	;; [unrolled: 1-line block ×4, first 2 shown]
	v_mov_b32_e32 v29, v0
	s_branch .LBB3_4
.LBB3_3:                                ;   in Loop: Header=BB3_4 Depth=1
	s_or_b64 exec, exec, s[26:27]
	v_mov_b32_e32 v6, s25
	v_add_co_u32_e32 v5, vcc, s24, v31
	s_add_u32 s24, s24, s30
	v_addc_co_u32_e32 v6, vcc, 0, v6, vcc
	s_addc_u32 s25, s25, 0
	v_add_co_u32_e32 v29, vcc, s29, v29
	s_add_u32 s22, s22, s30
	v_addc_co_u32_e32 v30, vcc, 0, v30, vcc
	s_addc_u32 s23, s23, 0
	global_store_dwordx4 v[5:6], v[1:4], off
	s_add_u32 s20, s20, s30
	v_lshlrev_b64 v[1:2], 2, v[29:30]
	s_addc_u32 s21, s21, 0
	s_add_u32 s18, s18, s30
	v_cmp_le_i64_e32 vcc, s[2:3], v[1:2]
	s_addc_u32 s19, s19, 0
	s_or_b64 s[16:17], vcc, s[16:17]
	global_store_dwordx4 v[5:6], v[17:20], off offset:16
	s_andn2_b64 exec, exec, s[16:17]
	s_cbranch_execz .LBB3_20
.LBB3_4:                                ; =>This Inner Loop Header: Depth=1
	v_mov_b32_e32 v2, s23
	v_add_co_u32_e32 v1, vcc, s22, v31
	v_addc_co_u32_e32 v2, vcc, 0, v2, vcc
	v_mov_b32_e32 v4, s19
	v_add_co_u32_e32 v3, vcc, s18, v31
	v_addc_co_u32_e32 v4, vcc, 0, v4, vcc
	global_load_dwordx4 v[25:28], v[3:4], off
	v_mov_b32_e32 v5, s21
	v_add_co_u32_e32 v32, vcc, s20, v31
	v_addc_co_u32_e32 v33, vcc, 0, v5, vcc
	global_load_dwordx4 v[17:20], v[32:33], off
	global_load_dwordx4 v[21:24], v[1:2], off
	global_load_dwordx4 v[9:12], v[1:2], off offset:16
	global_load_dwordx4 v[5:8], v[32:33], off offset:16
	;; [unrolled: 1-line block ×3, first 2 shown]
	s_waitcnt vmcnt(4)
	v_mul_f32_e32 v1, v18, v18
	v_fmac_f32_e32 v1, v17, v17
	s_waitcnt vmcnt(3)
	v_sub_f32_e32 v4, v25, v21
	v_cmp_ngt_f32_e32 vcc, s28, v1
	v_sub_f32_e32 v3, v26, v22
                                        ; implicit-def: $vgpr2
	s_and_saveexec_b64 s[26:27], vcc
	s_xor_b64 s[26:27], exec, s[26:27]
; %bb.5:                                ;   in Loop: Header=BB3_4 Depth=1
	v_sub_f32_e32 v1, 1.0, v17
	v_mul_f32_e64 v2, v3, -v18
	v_fma_f32 v2, v4, v1, -v2
	v_mul_f32_e64 v4, v4, -v18
	v_fmac_f32_e32 v4, v3, v1
	v_sub_f32_e32 v1, v25, v2
	v_sub_f32_e32 v2, v26, v4
                                        ; implicit-def: $vgpr3
                                        ; implicit-def: $vgpr4
; %bb.6:                                ;   in Loop: Header=BB3_4 Depth=1
	s_andn2_saveexec_b64 s[26:27], s[26:27]
; %bb.7:                                ;   in Loop: Header=BB3_4 Depth=1
	v_mul_f32_e32 v1, v3, v18
	v_mul_f32_e32 v2, v4, v18
	v_fma_f32 v1, v4, v17, -v1
	v_fmac_f32_e32 v2, v3, v17
	v_add_f32_e32 v1, v21, v1
	v_add_f32_e32 v2, v22, v2
; %bb.8:                                ;   in Loop: Header=BB3_4 Depth=1
	s_or_b64 exec, exec, s[26:27]
	v_mul_f32_e32 v3, v20, v20
	v_fmac_f32_e32 v3, v19, v19
	v_cmp_ngt_f32_e32 vcc, s28, v3
	v_sub_f32_e32 v17, v27, v23
	v_sub_f32_e32 v25, v28, v24
	s_and_saveexec_b64 s[26:27], vcc
	s_xor_b64 s[26:27], exec, s[26:27]
; %bb.9:                                ;   in Loop: Header=BB3_4 Depth=1
	v_sub_f32_e32 v3, 1.0, v19
	v_mul_f32_e64 v4, v25, -v20
	v_fma_f32 v4, v17, v3, -v4
	v_mul_f32_e64 v17, v17, -v20
	v_fmac_f32_e32 v17, v25, v3
	v_sub_f32_e32 v3, v27, v4
	v_sub_f32_e32 v4, v28, v17
                                        ; implicit-def: $vgpr17_vgpr18_vgpr19_vgpr20
                                        ; implicit-def: $vgpr25
                                        ; implicit-def: $vgpr17
                                        ; implicit-def: $vgpr21_vgpr22_vgpr23_vgpr24
; %bb.10:                               ;   in Loop: Header=BB3_4 Depth=1
	s_andn2_saveexec_b64 s[26:27], s[26:27]
; %bb.11:                               ;   in Loop: Header=BB3_4 Depth=1
	v_mul_f32_e32 v3, v25, v20
	v_mul_f32_e32 v4, v17, v20
	v_fma_f32 v3, v17, v19, -v3
	v_fmac_f32_e32 v4, v25, v19
	v_add_f32_e32 v3, v23, v3
	v_add_f32_e32 v4, v24, v4
; %bb.12:                               ;   in Loop: Header=BB3_4 Depth=1
	s_or_b64 exec, exec, s[26:27]
	s_waitcnt vmcnt(1)
	v_mul_f32_e32 v17, v6, v6
	v_fmac_f32_e32 v17, v5, v5
	v_cmp_ngt_f32_e32 vcc, s28, v17
	s_waitcnt vmcnt(0)
	v_sub_f32_e32 v20, v13, v9
	v_sub_f32_e32 v19, v14, v10
                                        ; implicit-def: $vgpr18
	s_and_saveexec_b64 s[26:27], vcc
	s_xor_b64 s[26:27], exec, s[26:27]
; %bb.13:                               ;   in Loop: Header=BB3_4 Depth=1
	v_sub_f32_e32 v17, 1.0, v5
	v_mul_f32_e64 v18, v19, -v6
	v_fma_f32 v18, v20, v17, -v18
	v_mul_f32_e64 v20, v20, -v6
	v_fmac_f32_e32 v20, v19, v17
	v_sub_f32_e32 v17, v13, v18
	v_sub_f32_e32 v18, v14, v20
                                        ; implicit-def: $vgpr19
                                        ; implicit-def: $vgpr20
; %bb.14:                               ;   in Loop: Header=BB3_4 Depth=1
	s_andn2_saveexec_b64 s[26:27], s[26:27]
; %bb.15:                               ;   in Loop: Header=BB3_4 Depth=1
	v_mul_f32_e32 v13, v19, v6
	v_mul_f32_e32 v6, v20, v6
	v_fma_f32 v13, v20, v5, -v13
	v_fmac_f32_e32 v6, v19, v5
	v_add_f32_e32 v17, v9, v13
	v_add_f32_e32 v18, v10, v6
; %bb.16:                               ;   in Loop: Header=BB3_4 Depth=1
	s_or_b64 exec, exec, s[26:27]
	v_mul_f32_e32 v5, v8, v8
	v_fmac_f32_e32 v5, v7, v7
	v_cmp_ngt_f32_e32 vcc, s28, v5
	v_sub_f32_e32 v5, v15, v11
	v_sub_f32_e32 v13, v16, v12
	s_and_saveexec_b64 s[26:27], vcc
	s_xor_b64 s[26:27], exec, s[26:27]
; %bb.17:                               ;   in Loop: Header=BB3_4 Depth=1
	v_sub_f32_e32 v6, 1.0, v7
	v_mul_f32_e64 v7, v13, -v8
	v_fma_f32 v7, v5, v6, -v7
	v_mul_f32_e64 v5, v5, -v8
	v_fmac_f32_e32 v5, v13, v6
	v_sub_f32_e32 v19, v15, v7
	v_sub_f32_e32 v20, v16, v5
                                        ; implicit-def: $vgpr5_vgpr6_vgpr7_vgpr8
                                        ; implicit-def: $vgpr13
                                        ; implicit-def: $vgpr5
                                        ; implicit-def: $vgpr9_vgpr10_vgpr11_vgpr12
; %bb.18:                               ;   in Loop: Header=BB3_4 Depth=1
	s_andn2_saveexec_b64 s[26:27], s[26:27]
	s_cbranch_execz .LBB3_3
; %bb.19:                               ;   in Loop: Header=BB3_4 Depth=1
	v_mul_f32_e32 v6, v13, v8
	v_fma_f32 v6, v5, v7, -v6
	v_mul_f32_e32 v5, v5, v8
	v_fmac_f32_e32 v5, v13, v7
	v_add_f32_e32 v19, v11, v6
	v_add_f32_e32 v20, v12, v5
	s_branch .LBB3_3
.LBB3_20:
	s_or_b64 exec, exec, s[6:7]
	s_mov_b64 s[2:3], 0
.LBB3_21:
	s_andn2_b64 vcc, exec, s[2:3]
	s_cbranch_vccnz .LBB3_65
; %bb.22:
	v_cmp_lt_i64_e64 s[2:3], s[0:1], 1
	s_and_b64 vcc, exec, s[2:3]
	s_cbranch_vccnz .LBB3_65
; %bb.23:
	v_mov_b32_e32 v1, 0x10000
	s_load_dword s4, s[4:5], 0xbfc
	v_mov_b32_e32 v2, 0
	v_cmp_lt_i64_e32 vcc, s[0:1], v[1:2]
	s_mov_b64 s[20:21], 0
	s_and_b64 s[2:3], vcc, exec
	v_cmp_lt_u64_e32 vcc, s[0:1], v[1:2]
	s_cselect_b32 s17, s1, 0
	s_cselect_b32 s16, s0, 0x10000
	s_waitcnt lgkmcnt(0)
	s_and_b32 s24, s4, 0xffff
	s_and_b64 s[2:3], vcc, exec
	s_cselect_b32 s19, s1, 0
	s_cselect_b32 s18, s0, 0x10000
	s_lshl_b32 s25, s24, 1
	s_mul_i32 s26, s24, 3
	s_lshl_b32 s27, s24, 2
	s_mov_b32 s28, 0x3e800000
	s_branch .LBB3_25
.LBB3_24:                               ;   in Loop: Header=BB3_25 Depth=1
	s_or_b64 exec, exec, s[0:1]
	s_add_u32 s20, s20, s27
	v_mov_b32_e32 v1, s16
	s_addc_u32 s21, s21, 0
	v_mov_b32_e32 v2, s17
	v_cmp_ge_i64_e32 vcc, s[20:21], v[1:2]
	s_cbranch_vccnz .LBB3_65
.LBB3_25:                               ; =>This Inner Loop Header: Depth=1
	v_mov_b32_e32 v2, s21
	v_add_co_u32_e32 v1, vcc, s20, v0
	v_addc_co_u32_e32 v2, vcc, 0, v2, vcc
	v_cmp_gt_u64_e32 vcc, s[18:19], v[1:2]
	v_mov_b32_e32 v24, 0
	v_mov_b32_e32 v23, 0
	;; [unrolled: 1-line block ×4, first 2 shown]
	s_and_saveexec_b64 s[2:3], vcc
	s_cbranch_execz .LBB3_27
; %bb.26:                               ;   in Loop: Header=BB3_25 Depth=1
	v_lshlrev_b64 v[3:4], 3, v[1:2]
	v_mov_b32_e32 v6, s11
	v_add_co_u32_e64 v5, s[0:1], s10, v3
	v_addc_co_u32_e64 v6, s[0:1], v6, v4, s[0:1]
	v_mov_b32_e32 v7, s9
	v_add_co_u32_e64 v3, s[0:1], s8, v3
	v_addc_co_u32_e64 v4, s[0:1], v7, v4, s[0:1]
	global_load_dwordx2 v[15:16], v[3:4], off
	global_load_dwordx2 v[23:24], v[5:6], off
.LBB3_27:                               ;   in Loop: Header=BB3_25 Depth=1
	s_or_b64 exec, exec, s[2:3]
	v_mov_b32_e32 v10, 0
	v_mov_b32_e32 v26, 0
	;; [unrolled: 1-line block ×3, first 2 shown]
	s_and_saveexec_b64 s[2:3], vcc
	s_cbranch_execz .LBB3_29
; %bb.28:                               ;   in Loop: Header=BB3_25 Depth=1
	v_lshlrev_b64 v[3:4], 3, v[1:2]
	v_mov_b32_e32 v5, s13
	v_add_co_u32_e64 v3, s[0:1], s12, v3
	v_addc_co_u32_e64 v4, s[0:1], v5, v4, s[0:1]
	global_load_dwordx2 v[25:26], v[3:4], off
.LBB3_29:                               ;   in Loop: Header=BB3_25 Depth=1
	s_or_b64 exec, exec, s[2:3]
	v_add_co_u32_e64 v3, s[0:1], s24, v1
	v_addc_co_u32_e64 v4, s[0:1], 0, v2, s[0:1]
	v_cmp_gt_u64_e64 s[0:1], s[18:19], v[3:4]
	v_mov_b32_e32 v9, 0
	v_mov_b32_e32 v18, 0
	v_mov_b32_e32 v17, 0
	s_and_saveexec_b64 s[4:5], s[0:1]
	s_cbranch_execz .LBB3_31
; %bb.30:                               ;   in Loop: Header=BB3_25 Depth=1
	v_lshlrev_b64 v[5:6], 3, v[3:4]
	v_mov_b32_e32 v8, s11
	v_add_co_u32_e64 v7, s[2:3], s10, v5
	v_addc_co_u32_e64 v8, s[2:3], v8, v6, s[2:3]
	v_mov_b32_e32 v9, s9
	v_add_co_u32_e64 v5, s[2:3], s8, v5
	v_addc_co_u32_e64 v6, s[2:3], v9, v6, s[2:3]
	global_load_dwordx2 v[17:18], v[5:6], off
	global_load_dwordx2 v[9:10], v[7:8], off
.LBB3_31:                               ;   in Loop: Header=BB3_25 Depth=1
	s_or_b64 exec, exec, s[4:5]
	v_mov_b32_e32 v12, 0
	v_mov_b32_e32 v28, 0
	v_mov_b32_e32 v27, 0
	s_and_saveexec_b64 s[4:5], s[0:1]
	s_cbranch_execz .LBB3_33
; %bb.32:                               ;   in Loop: Header=BB3_25 Depth=1
	v_lshlrev_b64 v[5:6], 3, v[3:4]
	v_mov_b32_e32 v7, s13
	v_add_co_u32_e64 v5, s[2:3], s12, v5
	v_addc_co_u32_e64 v6, s[2:3], v7, v6, s[2:3]
	global_load_dwordx2 v[27:28], v[5:6], off
.LBB3_33:                               ;   in Loop: Header=BB3_25 Depth=1
	s_or_b64 exec, exec, s[4:5]
	v_add_co_u32_e64 v5, s[2:3], s25, v1
	v_addc_co_u32_e64 v6, s[2:3], 0, v2, s[2:3]
	v_cmp_gt_u64_e64 s[2:3], s[18:19], v[5:6]
	v_mov_b32_e32 v11, 0
	v_mov_b32_e32 v20, 0
	;; [unrolled: 1-line block ×3, first 2 shown]
	s_and_saveexec_b64 s[6:7], s[2:3]
	s_cbranch_execz .LBB3_35
; %bb.34:                               ;   in Loop: Header=BB3_25 Depth=1
	v_lshlrev_b64 v[7:8], 3, v[5:6]
	v_mov_b32_e32 v11, s11
	v_add_co_u32_e64 v13, s[4:5], s10, v7
	v_addc_co_u32_e64 v14, s[4:5], v11, v8, s[4:5]
	v_mov_b32_e32 v11, s9
	v_add_co_u32_e64 v7, s[4:5], s8, v7
	v_addc_co_u32_e64 v8, s[4:5], v11, v8, s[4:5]
	global_load_dwordx2 v[19:20], v[7:8], off
	global_load_dwordx2 v[11:12], v[13:14], off
.LBB3_35:                               ;   in Loop: Header=BB3_25 Depth=1
	s_or_b64 exec, exec, s[6:7]
	v_mov_b32_e32 v14, 0
	v_mov_b32_e32 v30, 0
	;; [unrolled: 1-line block ×3, first 2 shown]
	s_and_saveexec_b64 s[6:7], s[2:3]
	s_cbranch_execz .LBB3_37
; %bb.36:                               ;   in Loop: Header=BB3_25 Depth=1
	v_lshlrev_b64 v[7:8], 3, v[5:6]
	v_mov_b32_e32 v13, s13
	v_add_co_u32_e64 v7, s[4:5], s12, v7
	v_addc_co_u32_e64 v8, s[4:5], v13, v8, s[4:5]
	global_load_dwordx2 v[29:30], v[7:8], off
.LBB3_37:                               ;   in Loop: Header=BB3_25 Depth=1
	s_or_b64 exec, exec, s[6:7]
	v_add_co_u32_e64 v7, s[4:5], s26, v1
	v_addc_co_u32_e64 v8, s[4:5], 0, v2, s[4:5]
	v_cmp_gt_u64_e64 s[4:5], s[18:19], v[7:8]
	v_mov_b32_e32 v13, 0
	v_mov_b32_e32 v22, 0
	v_mov_b32_e32 v21, 0
	s_and_saveexec_b64 s[22:23], s[4:5]
	s_cbranch_execz .LBB3_39
; %bb.38:                               ;   in Loop: Header=BB3_25 Depth=1
	v_lshlrev_b64 v[13:14], 3, v[7:8]
	v_mov_b32_e32 v21, s11
	v_add_co_u32_e64 v31, s[6:7], s10, v13
	v_addc_co_u32_e64 v32, s[6:7], v21, v14, s[6:7]
	v_mov_b32_e32 v21, s9
	v_add_co_u32_e64 v33, s[6:7], s8, v13
	v_addc_co_u32_e64 v34, s[6:7], v21, v14, s[6:7]
	global_load_dwordx2 v[21:22], v[33:34], off
	global_load_dwordx2 v[13:14], v[31:32], off
.LBB3_39:                               ;   in Loop: Header=BB3_25 Depth=1
	s_or_b64 exec, exec, s[22:23]
	v_mov_b32_e32 v32, 0
	v_mov_b32_e32 v31, 0
	s_and_saveexec_b64 s[22:23], s[4:5]
	s_cbranch_execz .LBB3_41
; %bb.40:                               ;   in Loop: Header=BB3_25 Depth=1
	v_lshlrev_b64 v[31:32], 3, v[7:8]
	v_mov_b32_e32 v33, s13
	v_add_co_u32_e64 v31, s[6:7], s12, v31
	v_addc_co_u32_e64 v32, s[6:7], v33, v32, s[6:7]
	global_load_dwordx2 v[31:32], v[31:32], off
.LBB3_41:                               ;   in Loop: Header=BB3_25 Depth=1
	s_or_b64 exec, exec, s[22:23]
	s_waitcnt vmcnt(0)
	v_mul_f32_e32 v33, v25, v25
	v_fmac_f32_e32 v33, v26, v26
	v_cmp_ngt_f32_e64 s[6:7], s28, v33
	v_sub_f32_e32 v35, v23, v15
	v_sub_f32_e32 v36, v24, v16
                                        ; implicit-def: $vgpr34
	s_and_saveexec_b64 s[22:23], s[6:7]
	s_xor_b64 s[6:7], exec, s[22:23]
; %bb.42:                               ;   in Loop: Header=BB3_25 Depth=1
	v_sub_f32_e32 v15, 1.0, v25
	v_mul_f32_e64 v25, v36, -v26
	v_sub_f32_e32 v16, 0, v26
	v_fma_f32 v25, v35, v15, -v25
	v_mul_f32_e32 v15, v36, v15
	v_fmac_f32_e32 v15, v35, v16
	v_sub_f32_e32 v33, v23, v25
	v_sub_f32_e32 v34, v24, v15
                                        ; implicit-def: $vgpr36
                                        ; implicit-def: $vgpr26
                                        ; implicit-def: $vgpr35
                                        ; implicit-def: $vgpr15
; %bb.43:                               ;   in Loop: Header=BB3_25 Depth=1
	s_andn2_saveexec_b64 s[6:7], s[6:7]
; %bb.44:                               ;   in Loop: Header=BB3_25 Depth=1
	v_mul_f32_e32 v23, v36, v26
	v_mul_f32_e32 v24, v36, v25
	v_fma_f32 v23, v35, v25, -v23
	v_fmac_f32_e32 v24, v35, v26
	v_add_f32_e32 v33, v15, v23
	v_add_f32_e32 v34, v16, v24
; %bb.45:                               ;   in Loop: Header=BB3_25 Depth=1
	s_or_b64 exec, exec, s[6:7]
	v_mul_f32_e32 v15, v27, v27
	v_fmac_f32_e32 v15, v28, v28
	v_cmp_ngt_f32_e64 s[6:7], s28, v15
	v_sub_f32_e32 v23, v9, v17
	v_sub_f32_e32 v24, v10, v18
                                        ; implicit-def: $vgpr16
	s_and_saveexec_b64 s[22:23], s[6:7]
	s_xor_b64 s[6:7], exec, s[22:23]
; %bb.46:                               ;   in Loop: Header=BB3_25 Depth=1
	v_sub_f32_e32 v15, 1.0, v27
	v_sub_f32_e32 v16, 0, v28
	v_mul_f32_e64 v17, v24, -v28
	v_mul_f32_e32 v18, v24, v15
	v_fma_f32 v17, v23, v15, -v17
	v_fmac_f32_e32 v18, v23, v16
	v_sub_f32_e32 v15, v9, v17
	v_sub_f32_e32 v16, v10, v18
                                        ; implicit-def: $vgpr24
                                        ; implicit-def: $vgpr28
                                        ; implicit-def: $vgpr23
                                        ; implicit-def: $vgpr17
; %bb.47:                               ;   in Loop: Header=BB3_25 Depth=1
	s_andn2_saveexec_b64 s[6:7], s[6:7]
; %bb.48:                               ;   in Loop: Header=BB3_25 Depth=1
	v_mul_f32_e32 v9, v24, v28
	v_mul_f32_e32 v10, v24, v27
	v_fma_f32 v9, v23, v27, -v9
	v_fmac_f32_e32 v10, v23, v28
	v_add_f32_e32 v15, v17, v9
	v_add_f32_e32 v16, v18, v10
; %bb.49:                               ;   in Loop: Header=BB3_25 Depth=1
	s_or_b64 exec, exec, s[6:7]
	v_mul_f32_e32 v9, v29, v29
	v_fmac_f32_e32 v9, v30, v30
	v_cmp_ngt_f32_e64 s[6:7], s28, v9
	v_sub_f32_e32 v17, v11, v19
	v_sub_f32_e32 v18, v12, v20
                                        ; implicit-def: $vgpr10
	s_and_saveexec_b64 s[22:23], s[6:7]
	s_xor_b64 s[6:7], exec, s[22:23]
; %bb.50:                               ;   in Loop: Header=BB3_25 Depth=1
	v_sub_f32_e32 v9, 1.0, v29
	v_sub_f32_e32 v10, 0, v30
	v_mul_f32_e64 v19, v18, -v30
	v_mul_f32_e32 v18, v18, v9
	v_fma_f32 v19, v17, v9, -v19
	v_fmac_f32_e32 v18, v17, v10
	v_sub_f32_e32 v9, v11, v19
	v_sub_f32_e32 v10, v12, v18
                                        ; implicit-def: $vgpr18
                                        ; implicit-def: $vgpr30
                                        ; implicit-def: $vgpr17
                                        ; implicit-def: $vgpr19
; %bb.51:                               ;   in Loop: Header=BB3_25 Depth=1
	s_andn2_saveexec_b64 s[6:7], s[6:7]
; %bb.52:                               ;   in Loop: Header=BB3_25 Depth=1
	v_mul_f32_e32 v9, v18, v30
	v_mul_f32_e32 v10, v18, v29
	v_fma_f32 v9, v17, v29, -v9
	v_fmac_f32_e32 v10, v17, v30
	v_add_f32_e32 v9, v19, v9
	v_add_f32_e32 v10, v20, v10
; %bb.53:                               ;   in Loop: Header=BB3_25 Depth=1
	s_or_b64 exec, exec, s[6:7]
	v_mul_f32_e32 v11, v31, v31
	v_fmac_f32_e32 v11, v32, v32
	v_cmp_ngt_f32_e64 s[6:7], s28, v11
	v_sub_f32_e32 v17, v13, v21
	v_sub_f32_e32 v18, v14, v22
                                        ; implicit-def: $vgpr12
	s_and_saveexec_b64 s[22:23], s[6:7]
	s_xor_b64 s[6:7], exec, s[22:23]
	s_cbranch_execnz .LBB3_59
; %bb.54:                               ;   in Loop: Header=BB3_25 Depth=1
	s_andn2_saveexec_b64 s[6:7], s[6:7]
	s_cbranch_execnz .LBB3_60
.LBB3_55:                               ;   in Loop: Header=BB3_25 Depth=1
	s_or_b64 exec, exec, s[6:7]
	s_and_saveexec_b64 s[6:7], vcc
	s_xor_b64 s[6:7], exec, s[6:7]
	s_cbranch_execnz .LBB3_61
.LBB3_56:                               ;   in Loop: Header=BB3_25 Depth=1
	s_or_b64 exec, exec, s[6:7]
	s_and_saveexec_b64 s[6:7], s[0:1]
	s_cbranch_execnz .LBB3_62
.LBB3_57:                               ;   in Loop: Header=BB3_25 Depth=1
	s_or_b64 exec, exec, s[6:7]
	s_and_saveexec_b64 s[0:1], s[2:3]
	s_cbranch_execnz .LBB3_63
.LBB3_58:                               ;   in Loop: Header=BB3_25 Depth=1
	s_or_b64 exec, exec, s[0:1]
	s_and_saveexec_b64 s[0:1], s[4:5]
	s_cbranch_execz .LBB3_24
	s_branch .LBB3_64
.LBB3_59:                               ;   in Loop: Header=BB3_25 Depth=1
	v_sub_f32_e32 v11, 1.0, v31
	v_sub_f32_e32 v12, 0, v32
	v_mul_f32_e64 v19, v18, -v32
	v_mul_f32_e32 v18, v18, v11
	v_fma_f32 v19, v17, v11, -v19
	v_fmac_f32_e32 v18, v17, v12
	v_sub_f32_e32 v11, v13, v19
	v_sub_f32_e32 v12, v14, v18
                                        ; implicit-def: $vgpr18
                                        ; implicit-def: $vgpr32
                                        ; implicit-def: $vgpr17
                                        ; implicit-def: $vgpr21
	s_andn2_saveexec_b64 s[6:7], s[6:7]
	s_cbranch_execz .LBB3_55
.LBB3_60:                               ;   in Loop: Header=BB3_25 Depth=1
	v_mul_f32_e32 v11, v18, v32
	v_mul_f32_e32 v12, v18, v31
	v_fma_f32 v11, v17, v31, -v11
	v_fmac_f32_e32 v12, v17, v32
	v_add_f32_e32 v11, v21, v11
	v_add_f32_e32 v12, v22, v12
	s_or_b64 exec, exec, s[6:7]
	s_and_saveexec_b64 s[6:7], vcc
	s_xor_b64 s[6:7], exec, s[6:7]
	s_cbranch_execz .LBB3_56
.LBB3_61:                               ;   in Loop: Header=BB3_25 Depth=1
	v_lshlrev_b64 v[1:2], 3, v[1:2]
	v_mov_b32_e32 v13, s15
	v_add_co_u32_e32 v1, vcc, s14, v1
	v_addc_co_u32_e32 v2, vcc, v13, v2, vcc
	global_store_dwordx2 v[1:2], v[33:34], off
	s_or_b64 exec, exec, s[6:7]
	s_and_saveexec_b64 s[6:7], s[0:1]
	s_cbranch_execz .LBB3_57
.LBB3_62:                               ;   in Loop: Header=BB3_25 Depth=1
	v_lshlrev_b64 v[1:2], 3, v[3:4]
	v_mov_b32_e32 v3, s15
	v_add_co_u32_e32 v1, vcc, s14, v1
	v_addc_co_u32_e32 v2, vcc, v3, v2, vcc
	global_store_dwordx2 v[1:2], v[15:16], off
	s_or_b64 exec, exec, s[6:7]
	s_and_saveexec_b64 s[0:1], s[2:3]
	s_cbranch_execz .LBB3_58
.LBB3_63:                               ;   in Loop: Header=BB3_25 Depth=1
	v_lshlrev_b64 v[1:2], 3, v[5:6]
	v_mov_b32_e32 v3, s15
	v_add_co_u32_e32 v1, vcc, s14, v1
	v_addc_co_u32_e32 v2, vcc, v3, v2, vcc
	global_store_dwordx2 v[1:2], v[9:10], off
	s_or_b64 exec, exec, s[0:1]
	s_and_saveexec_b64 s[0:1], s[4:5]
	s_cbranch_execz .LBB3_24
.LBB3_64:                               ;   in Loop: Header=BB3_25 Depth=1
	v_lshlrev_b64 v[1:2], 3, v[7:8]
	v_mov_b32_e32 v3, s15
	v_add_co_u32_e32 v1, vcc, s14, v1
	v_addc_co_u32_e32 v2, vcc, v3, v2, vcc
	global_store_dwordx2 v[1:2], v[11:12], off
	s_branch .LBB3_24
.LBB3_65:
	s_endpgm
	.section	.rodata,"a",@progbits
	.p2align	6, 0x0
	.amdhsa_kernel _ZN2at6native12_GLOBAL__N_125multi_tensor_apply_kernelINS1_18TensorListMetadataILi4EEENS1_20TernaryOpListFunctorIN3c107complexIfEELi4ELi3ELi3EEEJNS0_11LerpFunctorIS8_EEEEEvT_T0_DpT1_
		.amdhsa_group_segment_fixed_size 0
		.amdhsa_private_segment_fixed_size 0
		.amdhsa_kernarg_size 3312
		.amdhsa_user_sgpr_count 6
		.amdhsa_user_sgpr_private_segment_buffer 1
		.amdhsa_user_sgpr_dispatch_ptr 0
		.amdhsa_user_sgpr_queue_ptr 0
		.amdhsa_user_sgpr_kernarg_segment_ptr 1
		.amdhsa_user_sgpr_dispatch_id 0
		.amdhsa_user_sgpr_flat_scratch_init 0
		.amdhsa_user_sgpr_private_segment_size 0
		.amdhsa_uses_dynamic_stack 0
		.amdhsa_system_sgpr_private_segment_wavefront_offset 0
		.amdhsa_system_sgpr_workgroup_id_x 1
		.amdhsa_system_sgpr_workgroup_id_y 0
		.amdhsa_system_sgpr_workgroup_id_z 0
		.amdhsa_system_sgpr_workgroup_info 0
		.amdhsa_system_vgpr_workitem_id 0
		.amdhsa_next_free_vgpr 37
		.amdhsa_next_free_sgpr 31
		.amdhsa_reserve_vcc 1
		.amdhsa_reserve_flat_scratch 0
		.amdhsa_float_round_mode_32 0
		.amdhsa_float_round_mode_16_64 0
		.amdhsa_float_denorm_mode_32 3
		.amdhsa_float_denorm_mode_16_64 3
		.amdhsa_dx10_clamp 1
		.amdhsa_ieee_mode 1
		.amdhsa_fp16_overflow 0
		.amdhsa_exception_fp_ieee_invalid_op 0
		.amdhsa_exception_fp_denorm_src 0
		.amdhsa_exception_fp_ieee_div_zero 0
		.amdhsa_exception_fp_ieee_overflow 0
		.amdhsa_exception_fp_ieee_underflow 0
		.amdhsa_exception_fp_ieee_inexact 0
		.amdhsa_exception_int_div_zero 0
	.end_amdhsa_kernel
	.section	.text._ZN2at6native12_GLOBAL__N_125multi_tensor_apply_kernelINS1_18TensorListMetadataILi4EEENS1_20TernaryOpListFunctorIN3c107complexIfEELi4ELi3ELi3EEEJNS0_11LerpFunctorIS8_EEEEEvT_T0_DpT1_,"axG",@progbits,_ZN2at6native12_GLOBAL__N_125multi_tensor_apply_kernelINS1_18TensorListMetadataILi4EEENS1_20TernaryOpListFunctorIN3c107complexIfEELi4ELi3ELi3EEEJNS0_11LerpFunctorIS8_EEEEEvT_T0_DpT1_,comdat
.Lfunc_end3:
	.size	_ZN2at6native12_GLOBAL__N_125multi_tensor_apply_kernelINS1_18TensorListMetadataILi4EEENS1_20TernaryOpListFunctorIN3c107complexIfEELi4ELi3ELi3EEEJNS0_11LerpFunctorIS8_EEEEEvT_T0_DpT1_, .Lfunc_end3-_ZN2at6native12_GLOBAL__N_125multi_tensor_apply_kernelINS1_18TensorListMetadataILi4EEENS1_20TernaryOpListFunctorIN3c107complexIfEELi4ELi3ELi3EEEJNS0_11LerpFunctorIS8_EEEEEvT_T0_DpT1_
                                        ; -- End function
	.set _ZN2at6native12_GLOBAL__N_125multi_tensor_apply_kernelINS1_18TensorListMetadataILi4EEENS1_20TernaryOpListFunctorIN3c107complexIfEELi4ELi3ELi3EEEJNS0_11LerpFunctorIS8_EEEEEvT_T0_DpT1_.num_vgpr, 37
	.set _ZN2at6native12_GLOBAL__N_125multi_tensor_apply_kernelINS1_18TensorListMetadataILi4EEENS1_20TernaryOpListFunctorIN3c107complexIfEELi4ELi3ELi3EEEJNS0_11LerpFunctorIS8_EEEEEvT_T0_DpT1_.num_agpr, 0
	.set _ZN2at6native12_GLOBAL__N_125multi_tensor_apply_kernelINS1_18TensorListMetadataILi4EEENS1_20TernaryOpListFunctorIN3c107complexIfEELi4ELi3ELi3EEEJNS0_11LerpFunctorIS8_EEEEEvT_T0_DpT1_.numbered_sgpr, 31
	.set _ZN2at6native12_GLOBAL__N_125multi_tensor_apply_kernelINS1_18TensorListMetadataILi4EEENS1_20TernaryOpListFunctorIN3c107complexIfEELi4ELi3ELi3EEEJNS0_11LerpFunctorIS8_EEEEEvT_T0_DpT1_.num_named_barrier, 0
	.set _ZN2at6native12_GLOBAL__N_125multi_tensor_apply_kernelINS1_18TensorListMetadataILi4EEENS1_20TernaryOpListFunctorIN3c107complexIfEELi4ELi3ELi3EEEJNS0_11LerpFunctorIS8_EEEEEvT_T0_DpT1_.private_seg_size, 0
	.set _ZN2at6native12_GLOBAL__N_125multi_tensor_apply_kernelINS1_18TensorListMetadataILi4EEENS1_20TernaryOpListFunctorIN3c107complexIfEELi4ELi3ELi3EEEJNS0_11LerpFunctorIS8_EEEEEvT_T0_DpT1_.uses_vcc, 1
	.set _ZN2at6native12_GLOBAL__N_125multi_tensor_apply_kernelINS1_18TensorListMetadataILi4EEENS1_20TernaryOpListFunctorIN3c107complexIfEELi4ELi3ELi3EEEJNS0_11LerpFunctorIS8_EEEEEvT_T0_DpT1_.uses_flat_scratch, 0
	.set _ZN2at6native12_GLOBAL__N_125multi_tensor_apply_kernelINS1_18TensorListMetadataILi4EEENS1_20TernaryOpListFunctorIN3c107complexIfEELi4ELi3ELi3EEEJNS0_11LerpFunctorIS8_EEEEEvT_T0_DpT1_.has_dyn_sized_stack, 0
	.set _ZN2at6native12_GLOBAL__N_125multi_tensor_apply_kernelINS1_18TensorListMetadataILi4EEENS1_20TernaryOpListFunctorIN3c107complexIfEELi4ELi3ELi3EEEJNS0_11LerpFunctorIS8_EEEEEvT_T0_DpT1_.has_recursion, 0
	.set _ZN2at6native12_GLOBAL__N_125multi_tensor_apply_kernelINS1_18TensorListMetadataILi4EEENS1_20TernaryOpListFunctorIN3c107complexIfEELi4ELi3ELi3EEEJNS0_11LerpFunctorIS8_EEEEEvT_T0_DpT1_.has_indirect_call, 0
	.section	.AMDGPU.csdata,"",@progbits
; Kernel info:
; codeLenInByte = 2488
; TotalNumSgprs: 35
; NumVgprs: 37
; ScratchSize: 0
; MemoryBound: 1
; FloatMode: 240
; IeeeMode: 1
; LDSByteSize: 0 bytes/workgroup (compile time only)
; SGPRBlocks: 4
; VGPRBlocks: 9
; NumSGPRsForWavesPerEU: 35
; NumVGPRsForWavesPerEU: 37
; Occupancy: 6
; WaveLimiterHint : 0
; COMPUTE_PGM_RSRC2:SCRATCH_EN: 0
; COMPUTE_PGM_RSRC2:USER_SGPR: 6
; COMPUTE_PGM_RSRC2:TRAP_HANDLER: 0
; COMPUTE_PGM_RSRC2:TGID_X_EN: 1
; COMPUTE_PGM_RSRC2:TGID_Y_EN: 0
; COMPUTE_PGM_RSRC2:TGID_Z_EN: 0
; COMPUTE_PGM_RSRC2:TIDIG_COMP_CNT: 0
	.section	.text._ZN2at6native12_GLOBAL__N_125multi_tensor_apply_kernelINS1_18TensorListMetadataILi4EEENS1_20TernaryOpListFunctorIN3c104HalfELi4ELi3ELi3EEEJNS0_11LerpFunctorIfEEEEEvT_T0_DpT1_,"axG",@progbits,_ZN2at6native12_GLOBAL__N_125multi_tensor_apply_kernelINS1_18TensorListMetadataILi4EEENS1_20TernaryOpListFunctorIN3c104HalfELi4ELi3ELi3EEEJNS0_11LerpFunctorIfEEEEEvT_T0_DpT1_,comdat
	.globl	_ZN2at6native12_GLOBAL__N_125multi_tensor_apply_kernelINS1_18TensorListMetadataILi4EEENS1_20TernaryOpListFunctorIN3c104HalfELi4ELi3ELi3EEEJNS0_11LerpFunctorIfEEEEEvT_T0_DpT1_ ; -- Begin function _ZN2at6native12_GLOBAL__N_125multi_tensor_apply_kernelINS1_18TensorListMetadataILi4EEENS1_20TernaryOpListFunctorIN3c104HalfELi4ELi3ELi3EEEJNS0_11LerpFunctorIfEEEEEvT_T0_DpT1_
	.p2align	8
	.type	_ZN2at6native12_GLOBAL__N_125multi_tensor_apply_kernelINS1_18TensorListMetadataILi4EEENS1_20TernaryOpListFunctorIN3c104HalfELi4ELi3ELi3EEEJNS0_11LerpFunctorIfEEEEEvT_T0_DpT1_,@function
_ZN2at6native12_GLOBAL__N_125multi_tensor_apply_kernelINS1_18TensorListMetadataILi4EEENS1_20TernaryOpListFunctorIN3c104HalfELi4ELi3ELi3EEEJNS0_11LerpFunctorIfEEEEEvT_T0_DpT1_: ; @_ZN2at6native12_GLOBAL__N_125multi_tensor_apply_kernelINS1_18TensorListMetadataILi4EEENS1_20TernaryOpListFunctorIN3c104HalfELi4ELi3ELi3EEEJNS0_11LerpFunctorIfEEEEEvT_T0_DpT1_
; %bb.0:
	v_mov_b32_e32 v1, s6
	global_load_ubyte v1, v1, s[4:5] offset:1440
	s_add_u32 s0, s4, s6
	s_mul_hi_u32 s2, s6, 3
	s_mul_i32 s6, s6, 3
	s_addc_u32 s7, s5, 0
	s_add_u32 s6, s0, s6
	s_addc_u32 s7, s7, s2
	s_load_dword s6, s[6:7], 0x6e0
	s_mov_b32 s1, 0
	s_mov_b32 s3, s1
	;; [unrolled: 1-line block ×3, first 2 shown]
	s_waitcnt lgkmcnt(0)
	s_ashr_i32 s7, s6, 31
	s_lshl_b64 s[8:9], s[6:7], 17
	s_waitcnt vmcnt(0)
	v_readfirstlane_b32 s0, v1
	s_lshl_b32 s0, s0, 3
	s_load_dwordx2 s[22:23], s[4:5], s0 offset:0x480
	s_load_dwordx2 s[20:21], s[4:5], s0 offset:0x0
	;; [unrolled: 1-line block ×5, first 2 shown]
	s_waitcnt lgkmcnt(0)
	s_and_b32 s0, s20, 7
	s_add_u32 s2, s18, s8
	s_and_b32 s2, s2, 7
	s_cmp_lg_u64 s[2:3], 0
	s_cselect_b64 s[2:3], -1, 0
	s_add_u32 s10, s16, s8
	s_or_b32 s10, s14, s10
	s_and_b32 s10, s10, 7
	s_cmp_lg_u32 s10, 0
	s_cselect_b64 s[12:13], -1, 0
	s_lshl_b64 s[6:7], s[6:7], 16
	s_or_b64 s[2:3], s[12:13], s[2:3]
	s_sub_u32 s12, s22, s6
	s_subb_u32 s13, s23, s7
	s_and_b32 s10, s22, 3
	s_or_b64 s[0:1], s[0:1], s[10:11]
	s_cmp_lg_u64 s[0:1], 0
	s_cselect_b64 s[0:1], -1, 0
	s_or_b64 s[0:1], s[2:3], s[0:1]
	s_andn2_b64 vcc, exec, s[0:1]
	s_mov_b64 s[0:1], -1
	s_cbranch_vccz .LBB4_5
; %bb.1:
	v_mov_b32_e32 v1, 0x10000
	v_mov_b32_e32 v2, 0
	v_cmp_lt_i64_e32 vcc, s[12:13], v[1:2]
	v_mov_b32_e32 v2, 0
	s_and_b64 s[0:1], vcc, exec
	s_cselect_b32 s11, s13, 0
	s_cselect_b32 s10, s12, 0x10000
	v_lshlrev_b32_e32 v1, 2, v0
	v_cmp_gt_i64_e32 vcc, s[10:11], v[1:2]
	s_and_saveexec_b64 s[22:23], vcc
	s_cbranch_execz .LBB4_4
; %bb.2:
	s_load_dword s0, s[4:5], 0xbfc
	v_mov_b32_e32 v1, v2
	v_lshlrev_b32_e32 v2, 3, v0
	v_mov_b32_e32 v4, s9
	v_add_co_u32_e32 v3, vcc, s8, v2
	s_waitcnt lgkmcnt(0)
	s_and_b32 s26, s0, 0xffff
	s_lshl_b32 s27, s26, 3
	s_add_u32 s28, s20, 4
	s_addc_u32 s0, s21, 0
	s_add_u32 s29, s18, 4
	s_addc_u32 s1, s19, 0
	v_mov_b32_e32 v2, v1
	v_addc_co_u32_e32 v4, vcc, 0, v4, vcc
	s_mov_b64 s[24:25], 0
	v_mov_b32_e32 v5, s0
	v_mov_b32_e32 v6, s1
	;; [unrolled: 1-line block ×5, first 2 shown]
.LBB4_3:                                ; =>This Inner Loop Header: Depth=1
	v_add_co_u32_e32 v9, vcc, s28, v3
	v_addc_co_u32_e32 v10, vcc, v5, v4, vcc
	v_add_co_u32_e32 v11, vcc, s29, v3
	v_addc_co_u32_e32 v12, vcc, v6, v4, vcc
	;; [unrolled: 2-line block ×3, first 2 shown]
	global_load_dwordx2 v[15:16], v[9:10], off offset:-4
	global_load_dwordx2 v[17:18], v[11:12], off offset:-4
	global_load_dwordx2 v[19:20], v[13:14], off
	v_add_co_u32_e32 v9, vcc, s14, v3
	v_addc_co_u32_e32 v10, vcc, v8, v4, vcc
	v_add_co_u32_e32 v1, vcc, s26, v1
	v_addc_co_u32_e32 v2, vcc, 0, v2, vcc
	;; [unrolled: 2-line block ×3, first 2 shown]
	v_lshlrev_b64 v[11:12], 2, v[1:2]
	s_waitcnt vmcnt(2)
	v_cvt_f32_f16_e32 v13, v15
	v_cvt_f32_f16_sdwa v14, v15 dst_sel:DWORD dst_unused:UNUSED_PAD src0_sel:WORD_1
	s_waitcnt vmcnt(1)
	v_cvt_f32_f16_e32 v21, v17
	v_cvt_f32_f16_sdwa v22, v17 dst_sel:DWORD dst_unused:UNUSED_PAD src0_sel:WORD_1
	s_waitcnt vmcnt(0)
	v_cvt_f32_f16_sdwa v23, v19 dst_sel:DWORD dst_unused:UNUSED_PAD src0_sel:WORD_1
	v_cvt_f32_f16_e32 v24, v19
	v_cvt_f32_f16_e32 v25, v16
	v_cvt_f32_f16_sdwa v26, v16 dst_sel:DWORD dst_unused:UNUSED_PAD src0_sel:WORD_1
	v_cvt_f32_f16_e32 v27, v18
	v_cvt_f32_f16_sdwa v28, v18 dst_sel:DWORD dst_unused:UNUSED_PAD src0_sel:WORD_1
	v_cvt_f32_f16_sdwa v29, v20 dst_sel:DWORD dst_unused:UNUSED_PAD src0_sel:WORD_1
	v_cvt_f32_f16_e32 v30, v20
	v_sub_f32_e32 v14, v22, v14
	v_sub_f32_e32 v13, v21, v13
	v_sub_f32_e32 v21, 1.0, v23
	v_sub_f32_e32 v22, 1.0, v24
	v_sub_f32_e32 v26, v28, v26
	v_sub_f32_e32 v25, v27, v25
	v_sub_f32_e32 v27, 1.0, v29
	v_sub_f32_e32 v28, 1.0, v30
	v_fma_mix_f32 v31, v13, v19, v15 op_sel_hi:[0,1,1]
	v_fma_mix_f32 v13, -v13, v22, v17 op_sel_hi:[0,0,1]
	v_cmp_lt_f32_e64 vcc, |v24|, 0.5
	v_fma_mix_f32 v15, v14, v19, v15 op_sel:[0,1,1] op_sel_hi:[0,1,1]
	v_fma_mix_f32 v14, -v14, v21, v17 op_sel:[0,0,1] op_sel_hi:[0,0,1]
	v_fma_mix_f32 v17, v25, v20, v16 op_sel_hi:[0,1,1]
	v_fma_mix_f32 v19, -v25, v28, v18 op_sel_hi:[0,0,1]
	v_cmp_lt_f32_e64 s[0:1], |v30|, 0.5
	v_fma_mix_f32 v16, v26, v20, v16 op_sel:[0,1,1] op_sel_hi:[0,1,1]
	v_fma_mix_f32 v18, -v26, v27, v18 op_sel:[0,0,1] op_sel_hi:[0,0,1]
	v_cmp_lt_f32_e64 s[2:3], |v29|, 0.5
	v_cmp_lt_f32_e64 s[6:7], |v23|, 0.5
	v_cndmask_b32_e64 v14, v14, v15, s[6:7]
	v_cndmask_b32_e32 v13, v13, v31, vcc
	v_cndmask_b32_e64 v15, v18, v16, s[2:3]
	v_cndmask_b32_e64 v16, v19, v17, s[0:1]
	v_cvt_f16_f32_e32 v13, v13
	v_cvt_f16_f32_e32 v14, v14
	;; [unrolled: 1-line block ×4, first 2 shown]
	v_cmp_le_i64_e32 vcc, s[10:11], v[11:12]
	v_pack_b32_f16 v11, v13, v14
	s_or_b64 s[24:25], vcc, s[24:25]
	v_pack_b32_f16 v12, v16, v15
	global_store_dwordx2 v[9:10], v[11:12], off
	s_andn2_b64 exec, exec, s[24:25]
	s_cbranch_execnz .LBB4_3
.LBB4_4:
	s_or_b64 exec, exec, s[22:23]
	s_mov_b64 s[0:1], 0
.LBB4_5:
	s_andn2_b64 vcc, exec, s[0:1]
	s_cbranch_vccnz .LBB4_33
; %bb.6:
	v_cmp_lt_i64_e64 s[0:1], s[12:13], 1
	s_and_b64 vcc, exec, s[0:1]
	s_cbranch_vccnz .LBB4_33
; %bb.7:
	v_mov_b32_e32 v1, 0x10000
	s_load_dword s2, s[4:5], 0xbfc
	v_mov_b32_e32 v2, 0
	v_cmp_lt_i64_e32 vcc, s[12:13], v[1:2]
	v_mov_b32_e32 v24, 0
	s_and_b64 s[0:1], vcc, exec
	s_cselect_b32 s11, s13, 0
	s_cselect_b32 s10, s12, 0x10000
	s_waitcnt lgkmcnt(0)
	s_and_b32 s2, s2, 0xffff
	v_lshlrev_b32_e32 v23, 1, v0
	v_mad_u64_u32 v[7:8], s[0:1], s2, 6, v[23:24]
	v_cmp_lt_u64_e32 vcc, s[12:13], v[1:2]
	v_mov_b32_e32 v2, s21
	s_and_b64 s[0:1], vcc, exec
	v_add_co_u32_e32 v1, vcc, s20, v7
	v_addc_co_u32_e32 v2, vcc, v2, v8, vcc
	v_mov_b32_e32 v4, s19
	v_add_co_u32_e32 v3, vcc, s18, v7
	v_addc_co_u32_e32 v4, vcc, v4, v8, vcc
	v_mov_b32_e32 v6, s17
	;; [unrolled: 3-line block ×3, first 2 shown]
	v_add_co_u32_e32 v7, vcc, s14, v7
	s_cselect_b32 s13, s13, 0
	s_cselect_b32 s12, s12, 0x10000
	s_lshl_b32 s22, s2, 2
	v_addc_co_u32_e32 v8, vcc, v9, v8, vcc
	v_add_co_u32_e32 v15, vcc, s22, v23
	v_addc_co_u32_e64 v16, s[0:1], 0, 0, vcc
	v_mov_b32_e32 v10, s21
	v_add_co_u32_e32 v9, vcc, s20, v15
	v_addc_co_u32_e32 v10, vcc, v10, v16, vcc
	v_mov_b32_e32 v12, s19
	v_add_co_u32_e32 v11, vcc, s18, v15
	v_addc_co_u32_e32 v12, vcc, v12, v16, vcc
	;; [unrolled: 3-line block ×8, first 2 shown]
	v_add_co_u32_e32 v25, vcc, s2, v0
	v_lshlrev_b32_e32 v33, 1, v25
	v_addc_co_u32_e64 v26, s[0:1], 0, 0, vcc
	v_mov_b32_e32 v28, s21
	v_add_co_u32_e32 v27, vcc, s20, v33
	v_addc_co_u32_e32 v28, vcc, 0, v28, vcc
	v_mov_b32_e32 v30, s19
	v_add_co_u32_e32 v29, vcc, s18, v33
	v_addc_co_u32_e32 v30, vcc, 0, v30, vcc
	;; [unrolled: 3-line block ×3, first 2 shown]
	v_mov_b32_e32 v34, s15
	v_add_co_u32_e32 v33, vcc, s14, v33
	s_mul_i32 s4, s2, 3
	v_addc_co_u32_e32 v34, vcc, 0, v34, vcc
	s_lshl_b32 s3, s2, 1
	v_add_co_u32_e32 v35, vcc, s4, v0
	v_addc_co_u32_e64 v36, s[0:1], 0, 0, vcc
	v_add_co_u32_e32 v37, vcc, s3, v0
	s_lshl_b32 s23, s2, 3
	s_mov_b64 s[14:15], 0
	v_addc_co_u32_e64 v38, s[0:1], 0, 0, vcc
	s_branch .LBB4_9
.LBB4_8:                                ;   in Loop: Header=BB4_9 Depth=1
	s_or_b64 exec, exec, s[0:1]
	v_add_co_u32_e32 v17, vcc, s23, v17
	v_addc_co_u32_e32 v18, vcc, 0, v18, vcc
	v_add_co_u32_e32 v19, vcc, s23, v19
	v_addc_co_u32_e32 v20, vcc, 0, v20, vcc
	;; [unrolled: 2-line block ×14, first 2 shown]
	s_add_u32 s14, s14, s22
	v_add_co_u32_e32 v31, vcc, s23, v31
	v_mov_b32_e32 v40, s11
	s_addc_u32 s15, s15, 0
	v_addc_co_u32_e32 v32, vcc, 0, v32, vcc
	v_mov_b32_e32 v39, s10
	v_cmp_ge_i64_e32 vcc, s[14:15], v[39:40]
	v_add_co_u32_e64 v33, s[0:1], s23, v33
	v_addc_co_u32_e64 v34, s[0:1], 0, v34, s[0:1]
	s_cbranch_vccnz .LBB4_33
.LBB4_9:                                ; =>This Inner Loop Header: Depth=1
	v_mov_b32_e32 v40, s15
	v_add_co_u32_e32 v39, vcc, s14, v0
	v_addc_co_u32_e32 v40, vcc, 0, v40, vcc
	v_cmp_gt_u64_e32 vcc, s[12:13], v[39:40]
	v_mov_b32_e32 v40, 0
	v_mov_b32_e32 v39, 0
	s_and_saveexec_b64 s[2:3], vcc
	s_cbranch_execz .LBB4_11
; %bb.10:                               ;   in Loop: Header=BB4_9 Depth=1
	v_mov_b32_e32 v42, s9
	v_add_co_u32_e64 v39, s[0:1], s8, v19
	v_addc_co_u32_e64 v40, s[0:1], v20, v42, s[0:1]
	v_add_co_u32_e64 v41, s[0:1], s8, v17
	v_addc_co_u32_e64 v42, s[0:1], v18, v42, s[0:1]
	global_load_ushort v43, v[41:42], off
	global_load_ushort v44, v[39:40], off
	s_waitcnt vmcnt(1)
	v_cvt_f32_f16_e32 v39, v43
	s_waitcnt vmcnt(0)
	v_cvt_f32_f16_e32 v40, v44
.LBB4_11:                               ;   in Loop: Header=BB4_9 Depth=1
	s_or_b64 exec, exec, s[2:3]
	v_mov_b32_e32 v41, 0
	v_mov_b32_e32 v42, 0
	s_and_saveexec_b64 s[2:3], vcc
	s_cbranch_execz .LBB4_13
; %bb.12:                               ;   in Loop: Header=BB4_9 Depth=1
	v_mov_b32_e32 v43, s9
	v_add_co_u32_e64 v42, s[0:1], s8, v21
	v_addc_co_u32_e64 v43, s[0:1], v22, v43, s[0:1]
	global_load_ushort v42, v[42:43], off
	s_waitcnt vmcnt(0)
	v_cvt_f32_f16_e32 v42, v42
.LBB4_13:                               ;   in Loop: Header=BB4_9 Depth=1
	s_or_b64 exec, exec, s[2:3]
	v_mov_b32_e32 v44, s15
	v_add_co_u32_e64 v43, s[0:1], s14, v25
	v_addc_co_u32_e64 v44, s[0:1], v26, v44, s[0:1]
	v_cmp_gt_u64_e64 s[0:1], s[12:13], v[43:44]
	v_mov_b32_e32 v43, 0
	s_and_saveexec_b64 s[4:5], s[0:1]
	s_cbranch_execz .LBB4_15
; %bb.14:                               ;   in Loop: Header=BB4_9 Depth=1
	v_mov_b32_e32 v41, s9
	v_add_co_u32_e64 v43, s[2:3], s8, v29
	v_addc_co_u32_e64 v44, s[2:3], v30, v41, s[2:3]
	v_add_co_u32_e64 v45, s[2:3], s8, v27
	v_addc_co_u32_e64 v46, s[2:3], v28, v41, s[2:3]
	global_load_ushort v41, v[45:46], off
	global_load_ushort v47, v[43:44], off
	s_waitcnt vmcnt(1)
	v_cvt_f32_f16_e32 v43, v41
	s_waitcnt vmcnt(0)
	v_cvt_f32_f16_e32 v41, v47
.LBB4_15:                               ;   in Loop: Header=BB4_9 Depth=1
	s_or_b64 exec, exec, s[4:5]
	v_mov_b32_e32 v44, 0
	v_mov_b32_e32 v45, 0
	s_and_saveexec_b64 s[4:5], s[0:1]
	s_cbranch_execz .LBB4_17
; %bb.16:                               ;   in Loop: Header=BB4_9 Depth=1
	v_mov_b32_e32 v46, s9
	v_add_co_u32_e64 v45, s[2:3], s8, v31
	v_addc_co_u32_e64 v46, s[2:3], v32, v46, s[2:3]
	global_load_ushort v45, v[45:46], off
	s_waitcnt vmcnt(0)
	v_cvt_f32_f16_e32 v45, v45
.LBB4_17:                               ;   in Loop: Header=BB4_9 Depth=1
	s_or_b64 exec, exec, s[4:5]
	v_mov_b32_e32 v47, s15
	v_add_co_u32_e64 v46, s[2:3], s14, v37
	v_addc_co_u32_e64 v47, s[2:3], v38, v47, s[2:3]
	v_cmp_gt_u64_e64 s[2:3], s[12:13], v[46:47]
	v_mov_b32_e32 v46, 0
	s_and_saveexec_b64 s[6:7], s[2:3]
	s_cbranch_execz .LBB4_19
; %bb.18:                               ;   in Loop: Header=BB4_9 Depth=1
	v_mov_b32_e32 v44, s9
	v_add_co_u32_e64 v46, s[4:5], s8, v11
	v_addc_co_u32_e64 v47, s[4:5], v12, v44, s[4:5]
	v_add_co_u32_e64 v48, s[4:5], s8, v9
	v_addc_co_u32_e64 v49, s[4:5], v10, v44, s[4:5]
	global_load_ushort v44, v[48:49], off
	global_load_ushort v50, v[46:47], off
	s_waitcnt vmcnt(1)
	v_cvt_f32_f16_e32 v46, v44
	s_waitcnt vmcnt(0)
	v_cvt_f32_f16_e32 v44, v50
.LBB4_19:                               ;   in Loop: Header=BB4_9 Depth=1
	s_or_b64 exec, exec, s[6:7]
	v_mov_b32_e32 v47, 0
	v_mov_b32_e32 v48, 0
	s_and_saveexec_b64 s[6:7], s[2:3]
	s_cbranch_execz .LBB4_21
; %bb.20:                               ;   in Loop: Header=BB4_9 Depth=1
	v_mov_b32_e32 v49, s9
	v_add_co_u32_e64 v48, s[4:5], s8, v13
	v_addc_co_u32_e64 v49, s[4:5], v14, v49, s[4:5]
	global_load_ushort v48, v[48:49], off
	s_waitcnt vmcnt(0)
	v_cvt_f32_f16_e32 v48, v48
.LBB4_21:                               ;   in Loop: Header=BB4_9 Depth=1
	s_or_b64 exec, exec, s[6:7]
	v_mov_b32_e32 v50, s15
	v_add_co_u32_e64 v49, s[4:5], s14, v35
	v_addc_co_u32_e64 v50, s[4:5], v36, v50, s[4:5]
	v_cmp_gt_u64_e64 s[4:5], s[12:13], v[49:50]
	v_mov_b32_e32 v49, 0
	s_and_saveexec_b64 s[16:17], s[4:5]
	s_cbranch_execnz .LBB4_27
; %bb.22:                               ;   in Loop: Header=BB4_9 Depth=1
	s_or_b64 exec, exec, s[16:17]
	v_mov_b32_e32 v50, 0
	s_and_saveexec_b64 s[16:17], s[4:5]
	s_cbranch_execnz .LBB4_28
.LBB4_23:                               ;   in Loop: Header=BB4_9 Depth=1
	s_or_b64 exec, exec, s[16:17]
	s_and_saveexec_b64 s[6:7], vcc
	s_cbranch_execnz .LBB4_29
.LBB4_24:                               ;   in Loop: Header=BB4_9 Depth=1
	s_or_b64 exec, exec, s[6:7]
	s_and_saveexec_b64 s[6:7], s[0:1]
	s_cbranch_execnz .LBB4_30
.LBB4_25:                               ;   in Loop: Header=BB4_9 Depth=1
	s_or_b64 exec, exec, s[6:7]
	s_and_saveexec_b64 s[0:1], s[2:3]
	s_cbranch_execnz .LBB4_31
.LBB4_26:                               ;   in Loop: Header=BB4_9 Depth=1
	s_or_b64 exec, exec, s[0:1]
	s_and_saveexec_b64 s[0:1], s[4:5]
	s_cbranch_execz .LBB4_8
	s_branch .LBB4_32
.LBB4_27:                               ;   in Loop: Header=BB4_9 Depth=1
	v_mov_b32_e32 v47, s9
	v_add_co_u32_e64 v49, s[6:7], s8, v3
	v_addc_co_u32_e64 v50, s[6:7], v4, v47, s[6:7]
	v_add_co_u32_e64 v51, s[6:7], s8, v1
	v_addc_co_u32_e64 v52, s[6:7], v2, v47, s[6:7]
	global_load_ushort v47, v[51:52], off
	global_load_ushort v53, v[49:50], off
	s_waitcnt vmcnt(1)
	v_cvt_f32_f16_e32 v49, v47
	s_waitcnt vmcnt(0)
	v_cvt_f32_f16_e32 v47, v53
	s_or_b64 exec, exec, s[16:17]
	v_mov_b32_e32 v50, 0
	s_and_saveexec_b64 s[16:17], s[4:5]
	s_cbranch_execz .LBB4_23
.LBB4_28:                               ;   in Loop: Header=BB4_9 Depth=1
	v_mov_b32_e32 v51, s9
	v_add_co_u32_e64 v50, s[6:7], s8, v5
	v_addc_co_u32_e64 v51, s[6:7], v6, v51, s[6:7]
	global_load_ushort v50, v[50:51], off
	s_waitcnt vmcnt(0)
	v_cvt_f32_f16_e32 v50, v50
	s_or_b64 exec, exec, s[16:17]
	s_and_saveexec_b64 s[6:7], vcc
	s_cbranch_execz .LBB4_24
.LBB4_29:                               ;   in Loop: Header=BB4_9 Depth=1
	v_sub_f32_e32 v51, v40, v39
	v_sub_f32_e32 v52, 1.0, v42
	v_fmac_f32_e32 v39, v51, v42
	v_fma_f32 v40, -v51, v52, v40
	v_cmp_lt_f32_e64 vcc, |v42|, 0.5
	v_cndmask_b32_e32 v39, v40, v39, vcc
	v_cvt_f16_f32_e32 v42, v39
	v_mov_b32_e32 v40, s9
	v_add_co_u32_e32 v39, vcc, s8, v23
	v_addc_co_u32_e32 v40, vcc, v24, v40, vcc
	global_store_short v[39:40], v42, off
	s_or_b64 exec, exec, s[6:7]
	s_and_saveexec_b64 s[6:7], s[0:1]
	s_cbranch_execz .LBB4_25
.LBB4_30:                               ;   in Loop: Header=BB4_9 Depth=1
	v_sub_f32_e32 v39, v41, v43
	v_sub_f32_e32 v40, 1.0, v45
	v_fmac_f32_e32 v43, v39, v45
	v_fma_f32 v39, -v39, v40, v41
	v_cmp_lt_f32_e64 vcc, |v45|, 0.5
	v_cndmask_b32_e32 v39, v39, v43, vcc
	v_cvt_f16_f32_e32 v41, v39
	v_mov_b32_e32 v40, s9
	v_add_co_u32_e32 v39, vcc, s8, v33
	v_addc_co_u32_e32 v40, vcc, v34, v40, vcc
	global_store_short v[39:40], v41, off
	s_or_b64 exec, exec, s[6:7]
	s_and_saveexec_b64 s[0:1], s[2:3]
	s_cbranch_execz .LBB4_26
.LBB4_31:                               ;   in Loop: Header=BB4_9 Depth=1
	v_sub_f32_e32 v39, v44, v46
	v_sub_f32_e32 v40, 1.0, v48
	v_fmac_f32_e32 v46, v39, v48
	v_fma_f32 v39, -v39, v40, v44
	v_cmp_lt_f32_e64 vcc, |v48|, 0.5
	v_cndmask_b32_e32 v39, v39, v46, vcc
	v_cvt_f16_f32_e32 v41, v39
	v_mov_b32_e32 v40, s9
	v_add_co_u32_e32 v39, vcc, s8, v15
	v_addc_co_u32_e32 v40, vcc, v16, v40, vcc
	global_store_short v[39:40], v41, off
	s_or_b64 exec, exec, s[0:1]
	s_and_saveexec_b64 s[0:1], s[4:5]
	s_cbranch_execz .LBB4_8
.LBB4_32:                               ;   in Loop: Header=BB4_9 Depth=1
	v_sub_f32_e32 v39, v47, v49
	v_sub_f32_e32 v40, 1.0, v50
	v_fmac_f32_e32 v49, v39, v50
	v_fma_f32 v39, -v39, v40, v47
	v_cmp_lt_f32_e64 vcc, |v50|, 0.5
	v_cndmask_b32_e32 v39, v39, v49, vcc
	v_cvt_f16_f32_e32 v41, v39
	v_mov_b32_e32 v40, s9
	v_add_co_u32_e32 v39, vcc, s8, v7
	v_addc_co_u32_e32 v40, vcc, v8, v40, vcc
	global_store_short v[39:40], v41, off
	s_branch .LBB4_8
.LBB4_33:
	s_endpgm
	.section	.rodata,"a",@progbits
	.p2align	6, 0x0
	.amdhsa_kernel _ZN2at6native12_GLOBAL__N_125multi_tensor_apply_kernelINS1_18TensorListMetadataILi4EEENS1_20TernaryOpListFunctorIN3c104HalfELi4ELi3ELi3EEEJNS0_11LerpFunctorIfEEEEEvT_T0_DpT1_
		.amdhsa_group_segment_fixed_size 0
		.amdhsa_private_segment_fixed_size 0
		.amdhsa_kernarg_size 3312
		.amdhsa_user_sgpr_count 6
		.amdhsa_user_sgpr_private_segment_buffer 1
		.amdhsa_user_sgpr_dispatch_ptr 0
		.amdhsa_user_sgpr_queue_ptr 0
		.amdhsa_user_sgpr_kernarg_segment_ptr 1
		.amdhsa_user_sgpr_dispatch_id 0
		.amdhsa_user_sgpr_flat_scratch_init 0
		.amdhsa_user_sgpr_private_segment_size 0
		.amdhsa_uses_dynamic_stack 0
		.amdhsa_system_sgpr_private_segment_wavefront_offset 0
		.amdhsa_system_sgpr_workgroup_id_x 1
		.amdhsa_system_sgpr_workgroup_id_y 0
		.amdhsa_system_sgpr_workgroup_id_z 0
		.amdhsa_system_sgpr_workgroup_info 0
		.amdhsa_system_vgpr_workitem_id 0
		.amdhsa_next_free_vgpr 54
		.amdhsa_next_free_sgpr 30
		.amdhsa_reserve_vcc 1
		.amdhsa_reserve_flat_scratch 0
		.amdhsa_float_round_mode_32 0
		.amdhsa_float_round_mode_16_64 0
		.amdhsa_float_denorm_mode_32 3
		.amdhsa_float_denorm_mode_16_64 3
		.amdhsa_dx10_clamp 1
		.amdhsa_ieee_mode 1
		.amdhsa_fp16_overflow 0
		.amdhsa_exception_fp_ieee_invalid_op 0
		.amdhsa_exception_fp_denorm_src 0
		.amdhsa_exception_fp_ieee_div_zero 0
		.amdhsa_exception_fp_ieee_overflow 0
		.amdhsa_exception_fp_ieee_underflow 0
		.amdhsa_exception_fp_ieee_inexact 0
		.amdhsa_exception_int_div_zero 0
	.end_amdhsa_kernel
	.section	.text._ZN2at6native12_GLOBAL__N_125multi_tensor_apply_kernelINS1_18TensorListMetadataILi4EEENS1_20TernaryOpListFunctorIN3c104HalfELi4ELi3ELi3EEEJNS0_11LerpFunctorIfEEEEEvT_T0_DpT1_,"axG",@progbits,_ZN2at6native12_GLOBAL__N_125multi_tensor_apply_kernelINS1_18TensorListMetadataILi4EEENS1_20TernaryOpListFunctorIN3c104HalfELi4ELi3ELi3EEEJNS0_11LerpFunctorIfEEEEEvT_T0_DpT1_,comdat
.Lfunc_end4:
	.size	_ZN2at6native12_GLOBAL__N_125multi_tensor_apply_kernelINS1_18TensorListMetadataILi4EEENS1_20TernaryOpListFunctorIN3c104HalfELi4ELi3ELi3EEEJNS0_11LerpFunctorIfEEEEEvT_T0_DpT1_, .Lfunc_end4-_ZN2at6native12_GLOBAL__N_125multi_tensor_apply_kernelINS1_18TensorListMetadataILi4EEENS1_20TernaryOpListFunctorIN3c104HalfELi4ELi3ELi3EEEJNS0_11LerpFunctorIfEEEEEvT_T0_DpT1_
                                        ; -- End function
	.set _ZN2at6native12_GLOBAL__N_125multi_tensor_apply_kernelINS1_18TensorListMetadataILi4EEENS1_20TernaryOpListFunctorIN3c104HalfELi4ELi3ELi3EEEJNS0_11LerpFunctorIfEEEEEvT_T0_DpT1_.num_vgpr, 54
	.set _ZN2at6native12_GLOBAL__N_125multi_tensor_apply_kernelINS1_18TensorListMetadataILi4EEENS1_20TernaryOpListFunctorIN3c104HalfELi4ELi3ELi3EEEJNS0_11LerpFunctorIfEEEEEvT_T0_DpT1_.num_agpr, 0
	.set _ZN2at6native12_GLOBAL__N_125multi_tensor_apply_kernelINS1_18TensorListMetadataILi4EEENS1_20TernaryOpListFunctorIN3c104HalfELi4ELi3ELi3EEEJNS0_11LerpFunctorIfEEEEEvT_T0_DpT1_.numbered_sgpr, 30
	.set _ZN2at6native12_GLOBAL__N_125multi_tensor_apply_kernelINS1_18TensorListMetadataILi4EEENS1_20TernaryOpListFunctorIN3c104HalfELi4ELi3ELi3EEEJNS0_11LerpFunctorIfEEEEEvT_T0_DpT1_.num_named_barrier, 0
	.set _ZN2at6native12_GLOBAL__N_125multi_tensor_apply_kernelINS1_18TensorListMetadataILi4EEENS1_20TernaryOpListFunctorIN3c104HalfELi4ELi3ELi3EEEJNS0_11LerpFunctorIfEEEEEvT_T0_DpT1_.private_seg_size, 0
	.set _ZN2at6native12_GLOBAL__N_125multi_tensor_apply_kernelINS1_18TensorListMetadataILi4EEENS1_20TernaryOpListFunctorIN3c104HalfELi4ELi3ELi3EEEJNS0_11LerpFunctorIfEEEEEvT_T0_DpT1_.uses_vcc, 1
	.set _ZN2at6native12_GLOBAL__N_125multi_tensor_apply_kernelINS1_18TensorListMetadataILi4EEENS1_20TernaryOpListFunctorIN3c104HalfELi4ELi3ELi3EEEJNS0_11LerpFunctorIfEEEEEvT_T0_DpT1_.uses_flat_scratch, 0
	.set _ZN2at6native12_GLOBAL__N_125multi_tensor_apply_kernelINS1_18TensorListMetadataILi4EEENS1_20TernaryOpListFunctorIN3c104HalfELi4ELi3ELi3EEEJNS0_11LerpFunctorIfEEEEEvT_T0_DpT1_.has_dyn_sized_stack, 0
	.set _ZN2at6native12_GLOBAL__N_125multi_tensor_apply_kernelINS1_18TensorListMetadataILi4EEENS1_20TernaryOpListFunctorIN3c104HalfELi4ELi3ELi3EEEJNS0_11LerpFunctorIfEEEEEvT_T0_DpT1_.has_recursion, 0
	.set _ZN2at6native12_GLOBAL__N_125multi_tensor_apply_kernelINS1_18TensorListMetadataILi4EEENS1_20TernaryOpListFunctorIN3c104HalfELi4ELi3ELi3EEEJNS0_11LerpFunctorIfEEEEEvT_T0_DpT1_.has_indirect_call, 0
	.section	.AMDGPU.csdata,"",@progbits
; Kernel info:
; codeLenInByte = 2284
; TotalNumSgprs: 34
; NumVgprs: 54
; ScratchSize: 0
; MemoryBound: 0
; FloatMode: 240
; IeeeMode: 1
; LDSByteSize: 0 bytes/workgroup (compile time only)
; SGPRBlocks: 4
; VGPRBlocks: 13
; NumSGPRsForWavesPerEU: 34
; NumVGPRsForWavesPerEU: 54
; Occupancy: 4
; WaveLimiterHint : 0
; COMPUTE_PGM_RSRC2:SCRATCH_EN: 0
; COMPUTE_PGM_RSRC2:USER_SGPR: 6
; COMPUTE_PGM_RSRC2:TRAP_HANDLER: 0
; COMPUTE_PGM_RSRC2:TGID_X_EN: 1
; COMPUTE_PGM_RSRC2:TGID_Y_EN: 0
; COMPUTE_PGM_RSRC2:TGID_Z_EN: 0
; COMPUTE_PGM_RSRC2:TIDIG_COMP_CNT: 0
	.section	.text._ZN2at6native12_GLOBAL__N_125multi_tensor_apply_kernelINS1_18TensorListMetadataILi4EEENS1_20TernaryOpListFunctorIN3c108BFloat16ELi4ELi3ELi3EEEJNS0_11LerpFunctorIfEEEEEvT_T0_DpT1_,"axG",@progbits,_ZN2at6native12_GLOBAL__N_125multi_tensor_apply_kernelINS1_18TensorListMetadataILi4EEENS1_20TernaryOpListFunctorIN3c108BFloat16ELi4ELi3ELi3EEEJNS0_11LerpFunctorIfEEEEEvT_T0_DpT1_,comdat
	.globl	_ZN2at6native12_GLOBAL__N_125multi_tensor_apply_kernelINS1_18TensorListMetadataILi4EEENS1_20TernaryOpListFunctorIN3c108BFloat16ELi4ELi3ELi3EEEJNS0_11LerpFunctorIfEEEEEvT_T0_DpT1_ ; -- Begin function _ZN2at6native12_GLOBAL__N_125multi_tensor_apply_kernelINS1_18TensorListMetadataILi4EEENS1_20TernaryOpListFunctorIN3c108BFloat16ELi4ELi3ELi3EEEJNS0_11LerpFunctorIfEEEEEvT_T0_DpT1_
	.p2align	8
	.type	_ZN2at6native12_GLOBAL__N_125multi_tensor_apply_kernelINS1_18TensorListMetadataILi4EEENS1_20TernaryOpListFunctorIN3c108BFloat16ELi4ELi3ELi3EEEJNS0_11LerpFunctorIfEEEEEvT_T0_DpT1_,@function
_ZN2at6native12_GLOBAL__N_125multi_tensor_apply_kernelINS1_18TensorListMetadataILi4EEENS1_20TernaryOpListFunctorIN3c108BFloat16ELi4ELi3ELi3EEEJNS0_11LerpFunctorIfEEEEEvT_T0_DpT1_: ; @_ZN2at6native12_GLOBAL__N_125multi_tensor_apply_kernelINS1_18TensorListMetadataILi4EEENS1_20TernaryOpListFunctorIN3c108BFloat16ELi4ELi3ELi3EEEJNS0_11LerpFunctorIfEEEEEvT_T0_DpT1_
; %bb.0:
	v_mov_b32_e32 v1, s6
	global_load_ubyte v1, v1, s[4:5] offset:1440
	s_add_u32 s0, s4, s6
	s_mul_hi_u32 s2, s6, 3
	s_mul_i32 s6, s6, 3
	s_addc_u32 s7, s5, 0
	s_add_u32 s6, s0, s6
	s_addc_u32 s7, s7, s2
	s_load_dword s10, s[6:7], 0x6e0
	s_mov_b32 s1, 0
	s_mov_b32 s3, s1
	s_mov_b32 s21, s1
	s_waitcnt lgkmcnt(0)
	s_ashr_i32 s11, s10, 31
	s_lshl_b64 s[8:9], s[10:11], 17
	s_waitcnt vmcnt(0)
	v_readfirstlane_b32 s0, v1
	s_lshl_b32 s0, s0, 3
	s_load_dwordx2 s[22:23], s[4:5], s0 offset:0x480
	s_load_dwordx2 s[18:19], s[4:5], s0 offset:0x0
	;; [unrolled: 1-line block ×5, first 2 shown]
	s_waitcnt lgkmcnt(0)
	s_and_b32 s0, s18, 7
	s_add_u32 s2, s16, s8
	s_and_b32 s2, s2, 7
	s_cmp_lg_u64 s[2:3], 0
	s_cselect_b64 s[2:3], -1, 0
	s_add_u32 s12, s14, s8
	s_or_b32 s12, s6, s12
	s_and_b32 s12, s12, 7
	s_cmp_lg_u32 s12, 0
	s_cselect_b64 s[12:13], -1, 0
	s_lshl_b64 s[10:11], s[10:11], 16
	s_or_b64 s[2:3], s[12:13], s[2:3]
	s_sub_u32 s12, s22, s10
	s_subb_u32 s13, s23, s11
	s_and_b32 s20, s22, 3
	s_or_b64 s[0:1], s[0:1], s[20:21]
	s_cmp_lg_u64 s[0:1], 0
	s_cselect_b64 s[0:1], -1, 0
	s_or_b64 s[0:1], s[2:3], s[0:1]
	s_andn2_b64 vcc, exec, s[0:1]
	s_mov_b64 s[0:1], -1
	s_cbranch_vccz .LBB5_5
; %bb.1:
	v_mov_b32_e32 v1, 0x10000
	v_mov_b32_e32 v2, 0
	v_cmp_lt_i64_e32 vcc, s[12:13], v[1:2]
	v_mov_b32_e32 v2, 0
	s_and_b64 s[0:1], vcc, exec
	s_cselect_b32 s11, s13, 0
	s_cselect_b32 s10, s12, 0x10000
	v_lshlrev_b32_e32 v1, 2, v0
	v_cmp_gt_i64_e32 vcc, s[10:11], v[1:2]
	s_and_saveexec_b64 s[20:21], vcc
	s_cbranch_execz .LBB5_4
; %bb.2:
	s_load_dword s0, s[4:5], 0xbfc
	v_mov_b32_e32 v1, v2
	v_lshlrev_b32_e32 v2, 3, v0
	v_mov_b32_e32 v4, s9
	v_add_co_u32_e32 v3, vcc, s8, v2
	s_waitcnt lgkmcnt(0)
	s_and_b32 s24, s0, 0xffff
	v_mov_b32_e32 v2, v1
	v_addc_co_u32_e32 v4, vcc, 0, v4, vcc
	s_lshl_b32 s25, s24, 3
	s_mov_b64 s[22:23], 0
	v_mov_b32_e32 v5, s19
	v_mov_b32_e32 v6, s17
	;; [unrolled: 1-line block ×3, first 2 shown]
	s_movk_i32 s26, 0x7fff
	v_mov_b32_e32 v8, 0x7fc0
	v_mov_b32_e32 v9, 0x7fc00000
	;; [unrolled: 1-line block ×4, first 2 shown]
.LBB5_3:                                ; =>This Inner Loop Header: Depth=1
	v_add_co_u32_e32 v11, vcc, s18, v3
	v_addc_co_u32_e32 v12, vcc, v5, v4, vcc
	v_add_co_u32_e32 v13, vcc, s16, v3
	v_addc_co_u32_e32 v14, vcc, v6, v4, vcc
	;; [unrolled: 2-line block ×3, first 2 shown]
	global_load_dwordx2 v[17:18], v[11:12], off
	global_load_dwordx2 v[19:20], v[13:14], off
	;; [unrolled: 1-line block ×3, first 2 shown]
	v_add_co_u32_e32 v11, vcc, s6, v3
	v_addc_co_u32_e32 v12, vcc, v10, v4, vcc
	v_add_co_u32_e32 v1, vcc, s24, v1
	v_addc_co_u32_e32 v2, vcc, 0, v2, vcc
	v_add_co_u32_e32 v3, vcc, s25, v3
	v_lshlrev_b64 v[13:14], 2, v[1:2]
	v_addc_co_u32_e32 v4, vcc, 0, v4, vcc
	v_cmp_le_i64_e32 vcc, s[10:11], v[13:14]
	s_or_b64 s[22:23], vcc, s[22:23]
	s_waitcnt vmcnt(2)
	v_lshlrev_b32_e32 v13, 16, v17
	s_waitcnt vmcnt(1)
	v_lshlrev_b32_e32 v14, 16, v19
	;; [unrolled: 2-line block ×3, first 2 shown]
	v_and_b32_e32 v16, 0xffff0000, v17
	v_and_b32_e32 v23, 0xffff0000, v19
	;; [unrolled: 1-line block ×3, first 2 shown]
	v_alignbit_b32 v17, v18, v17, 16
	v_alignbit_b32 v19, v20, v19, 16
	v_alignbit_b32 v21, v22, v21, 16
	v_and_b32_e32 v18, 0xffff0000, v18
	v_and_b32_e32 v20, 0xffff0000, v20
	;; [unrolled: 1-line block ×3, first 2 shown]
	v_sub_f32_e32 v25, v14, v13
	v_sub_f32_e32 v26, 1.0, v15
	v_sub_f32_e32 v27, v23, v16
	v_sub_f32_e32 v28, 1.0, v24
	v_and_b32_e32 v17, 0xffff0000, v17
	v_and_b32_e32 v19, 0xffff0000, v19
	;; [unrolled: 1-line block ×3, first 2 shown]
	v_sub_f32_e32 v29, v20, v18
	v_sub_f32_e32 v30, 1.0, v22
	v_fmac_f32_e32 v13, v25, v15
	v_fma_f32 v14, -v25, v26, v14
	v_fmac_f32_e32 v16, v27, v24
	v_fma_f32 v23, -v27, v28, v23
	v_cmp_lt_f32_e64 vcc, |v24|, 0.5
	v_sub_f32_e32 v24, v19, v17
	v_sub_f32_e32 v25, 1.0, v21
	v_cmp_lt_f32_e64 s[2:3], |v15|, 0.5
	v_fmac_f32_e32 v18, v29, v22
	v_fma_f32 v20, -v29, v30, v20
	v_cmp_lt_f32_e64 s[0:1], |v22|, 0.5
	v_cndmask_b32_e64 v13, v14, v13, s[2:3]
	v_cndmask_b32_e32 v14, v23, v16, vcc
	v_fmac_f32_e32 v17, v24, v21
	v_fma_f32 v15, -v24, v25, v19
	v_cmp_lt_f32_e64 vcc, |v21|, 0.5
	v_cndmask_b32_e64 v16, v20, v18, s[0:1]
	v_bfe_u32 v18, v13, 16, 1
	v_bfe_u32 v19, v14, 16, 1
	v_cndmask_b32_e32 v15, v15, v17, vcc
	v_bfe_u32 v17, v16, 16, 1
	v_add3_u32 v18, v13, v18, s26
	v_add3_u32 v19, v14, v19, s26
	v_bfe_u32 v20, v15, 16, 1
	v_add3_u32 v17, v16, v17, s26
	v_lshrrev_b32_e32 v18, 16, v18
	v_and_b32_e32 v19, 0xffff0000, v19
	v_cmp_o_f32_e32 vcc, v14, v14
	v_add3_u32 v14, v15, v20, s26
	v_cmp_o_f32_e64 s[2:3], v13, v13
	v_and_b32_e32 v17, 0xffff0000, v17
	v_cmp_o_f32_e64 s[0:1], v16, v16
	v_cndmask_b32_e64 v13, v8, v18, s[2:3]
	v_cndmask_b32_e32 v16, v9, v19, vcc
	v_lshrrev_b32_e32 v14, 16, v14
	v_cmp_o_f32_e32 vcc, v15, v15
	v_cndmask_b32_e64 v15, v9, v17, s[0:1]
	v_or_b32_e32 v13, v13, v16
	v_cndmask_b32_e32 v14, v8, v14, vcc
	v_or3_b32 v14, 0, v14, v15
	v_or3_b32 v13, v13, 0, 0
	global_store_dwordx2 v[11:12], v[13:14], off
	s_andn2_b64 exec, exec, s[22:23]
	s_cbranch_execnz .LBB5_3
.LBB5_4:
	s_or_b64 exec, exec, s[20:21]
	s_mov_b64 s[0:1], 0
.LBB5_5:
	s_andn2_b64 vcc, exec, s[0:1]
	s_cbranch_vccnz .LBB5_33
; %bb.6:
	v_cmp_lt_i64_e64 s[0:1], s[12:13], 1
	s_and_b64 vcc, exec, s[0:1]
	s_cbranch_vccnz .LBB5_33
; %bb.7:
	v_mov_b32_e32 v1, 0x10000
	s_load_dword s2, s[4:5], 0xbfc
	v_mov_b32_e32 v2, 0
	v_cmp_lt_i64_e32 vcc, s[12:13], v[1:2]
	v_mov_b32_e32 v3, 0
	s_and_b64 s[0:1], vcc, exec
	s_cselect_b32 s11, s13, 0
	s_cselect_b32 s10, s12, 0x10000
	v_cmp_lt_u64_e32 vcc, s[12:13], v[1:2]
	s_waitcnt lgkmcnt(0)
	s_and_b32 s2, s2, 0xffff
	v_lshlrev_b32_e32 v2, 1, v0
	v_mad_u64_u32 v[3:4], s[0:1], s2, 6, v[2:3]
	s_and_b64 s[0:1], vcc, exec
	v_mov_b32_e32 v8, s19
	v_add_co_u32_e32 v7, vcc, s18, v3
	v_addc_co_u32_e32 v8, vcc, v8, v4, vcc
	v_mov_b32_e32 v10, s17
	v_add_co_u32_e32 v9, vcc, s16, v3
	v_addc_co_u32_e32 v10, vcc, v10, v4, vcc
	;; [unrolled: 3-line block ×3, first 2 shown]
	v_mov_b32_e32 v14, s7
	v_add_co_u32_e32 v13, vcc, s6, v3
	s_cselect_b32 s13, s13, 0
	s_cselect_b32 s12, s12, 0x10000
	s_lshl_b32 s20, s2, 2
	v_addc_co_u32_e32 v14, vcc, v14, v4, vcc
	v_add_co_u32_e32 v4, vcc, s20, v2
	v_addc_co_u32_e64 v22, s[0:1], 0, 0, vcc
	v_mov_b32_e32 v16, s19
	v_add_co_u32_e32 v15, vcc, s18, v4
	v_addc_co_u32_e32 v16, vcc, v16, v22, vcc
	v_mov_b32_e32 v18, s17
	v_add_co_u32_e32 v17, vcc, s16, v4
	v_addc_co_u32_e32 v18, vcc, v18, v22, vcc
	;; [unrolled: 3-line block ×8, first 2 shown]
	v_add_co_u32_e32 v31, vcc, s2, v0
	v_lshlrev_b32_e32 v1, 1, v31
	v_addc_co_u32_e64 v32, s[0:1], 0, 0, vcc
	v_mov_b32_e32 v2, s19
	v_add_co_u32_e32 v33, vcc, s18, v1
	v_addc_co_u32_e32 v34, vcc, 0, v2, vcc
	v_mov_b32_e32 v2, s17
	v_add_co_u32_e32 v35, vcc, s16, v1
	v_addc_co_u32_e32 v36, vcc, 0, v2, vcc
	;; [unrolled: 3-line block ×3, first 2 shown]
	v_mov_b32_e32 v2, s7
	v_add_co_u32_e32 v39, vcc, s6, v1
	s_mul_i32 s4, s2, 3
	v_addc_co_u32_e32 v40, vcc, 0, v2, vcc
	s_lshl_b32 s3, s2, 1
	v_add_co_u32_e32 v41, vcc, s4, v0
	v_addc_co_u32_e64 v42, s[0:1], 0, 0, vcc
	v_add_co_u32_e32 v43, vcc, s3, v0
	s_mov_b32 s21, 0
	s_lshl_b32 s22, s2, 3
	s_mov_b64 s[14:15], 0
	s_movk_i32 s18, 0x7fff
	v_addc_co_u32_e64 v44, s[0:1], 0, 0, vcc
	v_mov_b32_e32 v45, 0x7fc0
	s_branch .LBB5_9
.LBB5_8:                                ;   in Loop: Header=BB5_9 Depth=1
	s_or_b64 exec, exec, s[0:1]
	v_add_co_u32_e32 v23, vcc, s22, v23
	v_addc_co_u32_e32 v24, vcc, 0, v24, vcc
	v_add_co_u32_e32 v25, vcc, s22, v25
	v_addc_co_u32_e32 v26, vcc, 0, v26, vcc
	v_add_co_u32_e32 v27, vcc, s22, v27
	v_addc_co_u32_e32 v28, vcc, 0, v28, vcc
	v_add_co_u32_e32 v29, vcc, s22, v29
	v_addc_co_u32_e32 v30, vcc, 0, v30, vcc
	v_add_co_u32_e32 v7, vcc, s22, v7
	v_addc_co_u32_e32 v8, vcc, 0, v8, vcc
	v_add_co_u32_e32 v9, vcc, s22, v9
	v_addc_co_u32_e32 v10, vcc, 0, v10, vcc
	v_add_co_u32_e32 v11, vcc, s22, v11
	v_addc_co_u32_e32 v12, vcc, 0, v12, vcc
	v_add_co_u32_e32 v13, vcc, s22, v13
	v_addc_co_u32_e32 v14, vcc, 0, v14, vcc
	v_add_co_u32_e32 v15, vcc, s22, v15
	v_addc_co_u32_e32 v16, vcc, 0, v16, vcc
	v_add_co_u32_e32 v17, vcc, s22, v17
	v_addc_co_u32_e32 v18, vcc, 0, v18, vcc
	v_add_co_u32_e32 v19, vcc, s22, v19
	v_addc_co_u32_e32 v20, vcc, 0, v20, vcc
	v_add_co_u32_e32 v21, vcc, s22, v21
	v_addc_co_u32_e32 v22, vcc, 0, v22, vcc
	v_add_co_u32_e32 v33, vcc, s22, v33
	v_addc_co_u32_e32 v34, vcc, 0, v34, vcc
	v_add_co_u32_e32 v35, vcc, s22, v35
	v_addc_co_u32_e32 v36, vcc, 0, v36, vcc
	s_add_u32 s14, s14, s20
	v_add_co_u32_e32 v37, vcc, s22, v37
	v_mov_b32_e32 v1, s10
	s_addc_u32 s15, s15, 0
	v_addc_co_u32_e32 v38, vcc, 0, v38, vcc
	v_mov_b32_e32 v2, s11
	v_cmp_ge_i64_e32 vcc, s[14:15], v[1:2]
	v_add_co_u32_e64 v39, s[0:1], s22, v39
	v_addc_co_u32_e64 v40, s[0:1], 0, v40, s[0:1]
	s_cbranch_vccnz .LBB5_33
.LBB5_9:                                ; =>This Inner Loop Header: Depth=1
	v_mov_b32_e32 v2, s15
	v_add_co_u32_e32 v1, vcc, s14, v0
	v_addc_co_u32_e32 v2, vcc, 0, v2, vcc
	v_cmp_gt_u64_e32 vcc, s[12:13], v[1:2]
	v_mov_b32_e32 v1, 0
	v_mov_b32_e32 v3, 0
	;; [unrolled: 1-line block ×6, first 2 shown]
	s_and_saveexec_b64 s[2:3], vcc
	s_cbranch_execz .LBB5_11
; %bb.10:                               ;   in Loop: Header=BB5_9 Depth=1
	v_mov_b32_e32 v6, s9
	v_add_co_u32_e64 v3, s[0:1], s8, v25
	v_addc_co_u32_e64 v4, s[0:1], v26, v6, s[0:1]
	v_add_co_u32_e64 v5, s[0:1], s8, v23
	v_addc_co_u32_e64 v6, s[0:1], v24, v6, s[0:1]
	global_load_ushort v46, v[5:6], off
	global_load_ushort v47, v[3:4], off
	v_mov_b32_e32 v6, s21
	v_mov_b32_e32 v4, s21
	s_waitcnt vmcnt(1)
	v_and_b32_e32 v5, 0xffff, v46
	s_waitcnt vmcnt(0)
	v_and_b32_e32 v3, 0xffff, v47
.LBB5_11:                               ;   in Loop: Header=BB5_9 Depth=1
	s_or_b64 exec, exec, s[2:3]
	s_and_saveexec_b64 s[2:3], vcc
	s_cbranch_execz .LBB5_13
; %bb.12:                               ;   in Loop: Header=BB5_9 Depth=1
	v_mov_b32_e32 v2, s9
	v_add_co_u32_e64 v1, s[0:1], s8, v27
	v_addc_co_u32_e64 v2, s[0:1], v28, v2, s[0:1]
	global_load_ushort v1, v[1:2], off
	v_mov_b32_e32 v2, s21
	s_waitcnt vmcnt(0)
	v_and_b32_e32 v1, 0xffff, v1
.LBB5_13:                               ;   in Loop: Header=BB5_9 Depth=1
	s_or_b64 exec, exec, s[2:3]
	v_mov_b32_e32 v47, s15
	v_add_co_u32_e64 v46, s[0:1], s14, v31
	v_addc_co_u32_e64 v47, s[0:1], v32, v47, s[0:1]
	v_cmp_gt_u64_e64 s[0:1], s[12:13], v[46:47]
	s_and_saveexec_b64 s[4:5], s[0:1]
	s_cbranch_execz .LBB5_15
; %bb.14:                               ;   in Loop: Header=BB5_9 Depth=1
	v_mov_b32_e32 v48, s9
	v_add_co_u32_e64 v46, s[2:3], s8, v33
	v_addc_co_u32_e64 v47, s[2:3], v34, v48, s[2:3]
	global_load_ushort v49, v[46:47], off
	v_add_co_u32_e64 v46, s[2:3], s8, v35
	v_addc_co_u32_e64 v47, s[2:3], v36, v48, s[2:3]
	global_load_ushort v46, v[46:47], off
	s_waitcnt vmcnt(1)
	v_lshl_or_b32 v5, v49, 16, v5
	s_waitcnt vmcnt(0)
	v_lshl_or_b32 v3, v46, 16, v3
.LBB5_15:                               ;   in Loop: Header=BB5_9 Depth=1
	s_or_b64 exec, exec, s[4:5]
	s_and_saveexec_b64 s[4:5], s[0:1]
	s_cbranch_execz .LBB5_17
; %bb.16:                               ;   in Loop: Header=BB5_9 Depth=1
	v_mov_b32_e32 v47, s9
	v_add_co_u32_e64 v46, s[2:3], s8, v37
	v_addc_co_u32_e64 v47, s[2:3], v38, v47, s[2:3]
	global_load_ushort v46, v[46:47], off
	s_waitcnt vmcnt(0)
	v_lshl_or_b32 v1, v46, 16, v1
.LBB5_17:                               ;   in Loop: Header=BB5_9 Depth=1
	s_or_b64 exec, exec, s[4:5]
	v_mov_b32_e32 v47, s15
	v_add_co_u32_e64 v46, s[2:3], s14, v43
	v_addc_co_u32_e64 v47, s[2:3], v44, v47, s[2:3]
	v_cmp_gt_u64_e64 s[2:3], s[12:13], v[46:47]
	v_cmp_le_u64_e64 s[4:5], s[12:13], v[46:47]
	s_and_saveexec_b64 s[6:7], s[4:5]
	s_xor_b64 s[4:5], exec, s[6:7]
	s_andn2_saveexec_b64 s[6:7], s[4:5]
	s_cbranch_execz .LBB5_19
; %bb.18:                               ;   in Loop: Header=BB5_9 Depth=1
	v_mov_b32_e32 v48, s9
	v_add_co_u32_e64 v46, s[4:5], s8, v15
	v_addc_co_u32_e64 v47, s[4:5], v16, v48, s[4:5]
	global_load_ushort v49, v[46:47], off
	v_add_co_u32_e64 v46, s[4:5], s8, v17
	v_addc_co_u32_e64 v47, s[4:5], v18, v48, s[4:5]
	global_load_ushort v46, v[46:47], off
	s_waitcnt vmcnt(1)
	v_or_b32_e32 v6, v49, v6
	s_waitcnt vmcnt(0)
	v_or_b32_e32 v4, v46, v4
.LBB5_19:                               ;   in Loop: Header=BB5_9 Depth=1
	s_or_b64 exec, exec, s[6:7]
	s_and_saveexec_b64 s[6:7], s[2:3]
	s_cbranch_execz .LBB5_21
; %bb.20:                               ;   in Loop: Header=BB5_9 Depth=1
	v_mov_b32_e32 v47, s9
	v_add_co_u32_e64 v46, s[4:5], s8, v19
	v_addc_co_u32_e64 v47, s[4:5], v20, v47, s[4:5]
	global_load_ushort v46, v[46:47], off
	s_waitcnt vmcnt(0)
	v_or_b32_e32 v2, v46, v2
.LBB5_21:                               ;   in Loop: Header=BB5_9 Depth=1
	s_or_b64 exec, exec, s[6:7]
	v_mov_b32_e32 v47, s15
	v_add_co_u32_e64 v46, s[4:5], s14, v41
	v_addc_co_u32_e64 v47, s[4:5], v42, v47, s[4:5]
	v_cmp_gt_u64_e64 s[4:5], s[12:13], v[46:47]
	s_and_saveexec_b64 s[16:17], s[4:5]
	s_cbranch_execnz .LBB5_27
; %bb.22:                               ;   in Loop: Header=BB5_9 Depth=1
	s_or_b64 exec, exec, s[16:17]
	s_and_saveexec_b64 s[16:17], s[4:5]
	s_cbranch_execnz .LBB5_28
.LBB5_23:                               ;   in Loop: Header=BB5_9 Depth=1
	s_or_b64 exec, exec, s[16:17]
	s_and_saveexec_b64 s[6:7], vcc
	s_cbranch_execnz .LBB5_29
.LBB5_24:                               ;   in Loop: Header=BB5_9 Depth=1
	s_or_b64 exec, exec, s[6:7]
	s_and_saveexec_b64 s[6:7], s[0:1]
	s_cbranch_execnz .LBB5_30
.LBB5_25:                               ;   in Loop: Header=BB5_9 Depth=1
	s_or_b64 exec, exec, s[6:7]
	s_and_saveexec_b64 s[0:1], s[2:3]
	s_cbranch_execnz .LBB5_31
.LBB5_26:                               ;   in Loop: Header=BB5_9 Depth=1
	s_or_b64 exec, exec, s[0:1]
	s_and_saveexec_b64 s[0:1], s[4:5]
	s_cbranch_execz .LBB5_8
	s_branch .LBB5_32
.LBB5_27:                               ;   in Loop: Header=BB5_9 Depth=1
	v_mov_b32_e32 v48, s9
	v_add_co_u32_e64 v46, s[6:7], s8, v7
	v_addc_co_u32_e64 v47, s[6:7], v8, v48, s[6:7]
	global_load_ushort v49, v[46:47], off
	v_add_co_u32_e64 v46, s[6:7], s8, v9
	v_addc_co_u32_e64 v47, s[6:7], v10, v48, s[6:7]
	global_load_ushort v46, v[46:47], off
	v_add_co_u32_e64 v3, s[6:7], 0, v3
	s_waitcnt vmcnt(1)
	v_lshlrev_b32_e32 v47, 16, v49
	v_or_b32_e32 v6, v47, v6
	s_waitcnt vmcnt(0)
	v_lshlrev_b32_e32 v46, 16, v46
	v_addc_co_u32_e64 v4, s[6:7], v46, v4, s[6:7]
	s_or_b64 exec, exec, s[16:17]
	s_and_saveexec_b64 s[16:17], s[4:5]
	s_cbranch_execz .LBB5_23
.LBB5_28:                               ;   in Loop: Header=BB5_9 Depth=1
	v_mov_b32_e32 v47, s9
	v_add_co_u32_e64 v46, s[6:7], s8, v11
	v_addc_co_u32_e64 v47, s[6:7], v12, v47, s[6:7]
	global_load_ushort v46, v[46:47], off
	s_waitcnt vmcnt(0)
	v_lshlrev_b32_e32 v46, 16, v46
	v_or_b32_e32 v2, v46, v2
	s_or_b64 exec, exec, s[16:17]
	s_and_saveexec_b64 s[6:7], vcc
	s_cbranch_execz .LBB5_24
.LBB5_29:                               ;   in Loop: Header=BB5_9 Depth=1
	v_lshlrev_b32_e32 v46, 16, v1
	v_lshlrev_b32_e32 v47, 16, v3
	;; [unrolled: 1-line block ×3, first 2 shown]
	v_sub_f32_e32 v49, v47, v48
	v_sub_f32_e32 v50, 1.0, v46
	v_fmac_f32_e32 v48, v49, v46
	v_fma_f32 v47, -v49, v50, v47
	v_cmp_lt_f32_e64 vcc, |v46|, 0.5
	v_cndmask_b32_e32 v48, v47, v48, vcc
	v_bfe_u32 v46, v48, 16, 1
	v_add3_u32 v49, v48, v46, s18
	v_mov_b32_e32 v47, s9
	v_add_co_u32_e32 v46, vcc, s8, v29
	v_addc_co_u32_e32 v47, vcc, v30, v47, vcc
	v_cmp_o_f32_e32 vcc, v48, v48
	v_cndmask_b32_sdwa v48, v45, v49, vcc dst_sel:DWORD dst_unused:UNUSED_PAD src0_sel:DWORD src1_sel:WORD_1
	global_store_short v[46:47], v48, off
	s_or_b64 exec, exec, s[6:7]
	s_and_saveexec_b64 s[6:7], s[0:1]
	s_cbranch_execz .LBB5_25
.LBB5_30:                               ;   in Loop: Header=BB5_9 Depth=1
	v_and_b32_e32 v46, 0xffff0000, v5
	v_and_b32_e32 v47, 0xffff0000, v3
	;; [unrolled: 1-line block ×3, first 2 shown]
	v_sub_f32_e32 v49, v47, v46
	v_sub_f32_e32 v50, 1.0, v48
	v_fmac_f32_e32 v46, v49, v48
	v_fma_f32 v47, -v49, v50, v47
	v_cmp_lt_f32_e64 vcc, |v48|, 0.5
	v_cndmask_b32_e32 v46, v47, v46, vcc
	v_bfe_u32 v47, v46, 16, 1
	v_add3_u32 v47, v46, v47, s18
	v_cmp_o_f32_e32 vcc, v46, v46
	v_cndmask_b32_sdwa v48, v45, v47, vcc dst_sel:DWORD dst_unused:UNUSED_PAD src0_sel:DWORD src1_sel:WORD_1
	v_mov_b32_e32 v47, s9
	v_add_co_u32_e32 v46, vcc, s8, v39
	v_addc_co_u32_e32 v47, vcc, v40, v47, vcc
	global_store_short v[46:47], v48, off
	s_or_b64 exec, exec, s[6:7]
	s_and_saveexec_b64 s[0:1], s[2:3]
	s_cbranch_execz .LBB5_26
.LBB5_31:                               ;   in Loop: Header=BB5_9 Depth=1
	v_alignbit_b32 v5, v6, v5, 16
	v_alignbit_b32 v3, v4, v3, 16
	;; [unrolled: 1-line block ×3, first 2 shown]
	v_and_b32_e32 v5, 0xffff0000, v5
	v_and_b32_e32 v3, 0xffff0000, v3
	;; [unrolled: 1-line block ×3, first 2 shown]
	v_sub_f32_e32 v46, v3, v5
	v_sub_f32_e32 v47, 1.0, v1
	v_fmac_f32_e32 v5, v46, v1
	v_fma_f32 v3, -v46, v47, v3
	v_cmp_lt_f32_e64 vcc, |v1|, 0.5
	v_cndmask_b32_e32 v1, v3, v5, vcc
	v_bfe_u32 v3, v1, 16, 1
	v_add3_u32 v3, v1, v3, s18
	v_cmp_o_f32_e32 vcc, v1, v1
	v_cndmask_b32_sdwa v1, v45, v3, vcc dst_sel:DWORD dst_unused:UNUSED_PAD src0_sel:DWORD src1_sel:WORD_1
	v_mov_b32_e32 v3, s9
	v_add_co_u32_e32 v46, vcc, s8, v21
	v_addc_co_u32_e32 v47, vcc, v22, v3, vcc
	global_store_short v[46:47], v1, off
	s_or_b64 exec, exec, s[0:1]
	s_and_saveexec_b64 s[0:1], s[4:5]
	s_cbranch_execz .LBB5_8
.LBB5_32:                               ;   in Loop: Header=BB5_9 Depth=1
	v_and_b32_e32 v1, 0xffff0000, v6
	v_and_b32_e32 v3, 0xffff0000, v4
	;; [unrolled: 1-line block ×3, first 2 shown]
	v_sub_f32_e32 v4, v3, v1
	v_sub_f32_e32 v5, 1.0, v2
	v_fmac_f32_e32 v1, v4, v2
	v_fma_f32 v3, -v4, v5, v3
	v_cmp_lt_f32_e64 vcc, |v2|, 0.5
	v_cndmask_b32_e32 v1, v3, v1, vcc
	v_bfe_u32 v2, v1, 16, 1
	v_add3_u32 v2, v1, v2, s18
	v_cmp_o_f32_e32 vcc, v1, v1
	v_cndmask_b32_sdwa v3, v45, v2, vcc dst_sel:DWORD dst_unused:UNUSED_PAD src0_sel:DWORD src1_sel:WORD_1
	v_mov_b32_e32 v2, s9
	v_add_co_u32_e32 v1, vcc, s8, v13
	v_addc_co_u32_e32 v2, vcc, v14, v2, vcc
	global_store_short v[1:2], v3, off
	s_branch .LBB5_8
.LBB5_33:
	s_endpgm
	.section	.rodata,"a",@progbits
	.p2align	6, 0x0
	.amdhsa_kernel _ZN2at6native12_GLOBAL__N_125multi_tensor_apply_kernelINS1_18TensorListMetadataILi4EEENS1_20TernaryOpListFunctorIN3c108BFloat16ELi4ELi3ELi3EEEJNS0_11LerpFunctorIfEEEEEvT_T0_DpT1_
		.amdhsa_group_segment_fixed_size 0
		.amdhsa_private_segment_fixed_size 0
		.amdhsa_kernarg_size 3312
		.amdhsa_user_sgpr_count 6
		.amdhsa_user_sgpr_private_segment_buffer 1
		.amdhsa_user_sgpr_dispatch_ptr 0
		.amdhsa_user_sgpr_queue_ptr 0
		.amdhsa_user_sgpr_kernarg_segment_ptr 1
		.amdhsa_user_sgpr_dispatch_id 0
		.amdhsa_user_sgpr_flat_scratch_init 0
		.amdhsa_user_sgpr_private_segment_size 0
		.amdhsa_uses_dynamic_stack 0
		.amdhsa_system_sgpr_private_segment_wavefront_offset 0
		.amdhsa_system_sgpr_workgroup_id_x 1
		.amdhsa_system_sgpr_workgroup_id_y 0
		.amdhsa_system_sgpr_workgroup_id_z 0
		.amdhsa_system_sgpr_workgroup_info 0
		.amdhsa_system_vgpr_workitem_id 0
		.amdhsa_next_free_vgpr 51
		.amdhsa_next_free_sgpr 27
		.amdhsa_reserve_vcc 1
		.amdhsa_reserve_flat_scratch 0
		.amdhsa_float_round_mode_32 0
		.amdhsa_float_round_mode_16_64 0
		.amdhsa_float_denorm_mode_32 3
		.amdhsa_float_denorm_mode_16_64 3
		.amdhsa_dx10_clamp 1
		.amdhsa_ieee_mode 1
		.amdhsa_fp16_overflow 0
		.amdhsa_exception_fp_ieee_invalid_op 0
		.amdhsa_exception_fp_denorm_src 0
		.amdhsa_exception_fp_ieee_div_zero 0
		.amdhsa_exception_fp_ieee_overflow 0
		.amdhsa_exception_fp_ieee_underflow 0
		.amdhsa_exception_fp_ieee_inexact 0
		.amdhsa_exception_int_div_zero 0
	.end_amdhsa_kernel
	.section	.text._ZN2at6native12_GLOBAL__N_125multi_tensor_apply_kernelINS1_18TensorListMetadataILi4EEENS1_20TernaryOpListFunctorIN3c108BFloat16ELi4ELi3ELi3EEEJNS0_11LerpFunctorIfEEEEEvT_T0_DpT1_,"axG",@progbits,_ZN2at6native12_GLOBAL__N_125multi_tensor_apply_kernelINS1_18TensorListMetadataILi4EEENS1_20TernaryOpListFunctorIN3c108BFloat16ELi4ELi3ELi3EEEJNS0_11LerpFunctorIfEEEEEvT_T0_DpT1_,comdat
.Lfunc_end5:
	.size	_ZN2at6native12_GLOBAL__N_125multi_tensor_apply_kernelINS1_18TensorListMetadataILi4EEENS1_20TernaryOpListFunctorIN3c108BFloat16ELi4ELi3ELi3EEEJNS0_11LerpFunctorIfEEEEEvT_T0_DpT1_, .Lfunc_end5-_ZN2at6native12_GLOBAL__N_125multi_tensor_apply_kernelINS1_18TensorListMetadataILi4EEENS1_20TernaryOpListFunctorIN3c108BFloat16ELi4ELi3ELi3EEEJNS0_11LerpFunctorIfEEEEEvT_T0_DpT1_
                                        ; -- End function
	.set _ZN2at6native12_GLOBAL__N_125multi_tensor_apply_kernelINS1_18TensorListMetadataILi4EEENS1_20TernaryOpListFunctorIN3c108BFloat16ELi4ELi3ELi3EEEJNS0_11LerpFunctorIfEEEEEvT_T0_DpT1_.num_vgpr, 51
	.set _ZN2at6native12_GLOBAL__N_125multi_tensor_apply_kernelINS1_18TensorListMetadataILi4EEENS1_20TernaryOpListFunctorIN3c108BFloat16ELi4ELi3ELi3EEEJNS0_11LerpFunctorIfEEEEEvT_T0_DpT1_.num_agpr, 0
	.set _ZN2at6native12_GLOBAL__N_125multi_tensor_apply_kernelINS1_18TensorListMetadataILi4EEENS1_20TernaryOpListFunctorIN3c108BFloat16ELi4ELi3ELi3EEEJNS0_11LerpFunctorIfEEEEEvT_T0_DpT1_.numbered_sgpr, 27
	.set _ZN2at6native12_GLOBAL__N_125multi_tensor_apply_kernelINS1_18TensorListMetadataILi4EEENS1_20TernaryOpListFunctorIN3c108BFloat16ELi4ELi3ELi3EEEJNS0_11LerpFunctorIfEEEEEvT_T0_DpT1_.num_named_barrier, 0
	.set _ZN2at6native12_GLOBAL__N_125multi_tensor_apply_kernelINS1_18TensorListMetadataILi4EEENS1_20TernaryOpListFunctorIN3c108BFloat16ELi4ELi3ELi3EEEJNS0_11LerpFunctorIfEEEEEvT_T0_DpT1_.private_seg_size, 0
	.set _ZN2at6native12_GLOBAL__N_125multi_tensor_apply_kernelINS1_18TensorListMetadataILi4EEENS1_20TernaryOpListFunctorIN3c108BFloat16ELi4ELi3ELi3EEEJNS0_11LerpFunctorIfEEEEEvT_T0_DpT1_.uses_vcc, 1
	.set _ZN2at6native12_GLOBAL__N_125multi_tensor_apply_kernelINS1_18TensorListMetadataILi4EEENS1_20TernaryOpListFunctorIN3c108BFloat16ELi4ELi3ELi3EEEJNS0_11LerpFunctorIfEEEEEvT_T0_DpT1_.uses_flat_scratch, 0
	.set _ZN2at6native12_GLOBAL__N_125multi_tensor_apply_kernelINS1_18TensorListMetadataILi4EEENS1_20TernaryOpListFunctorIN3c108BFloat16ELi4ELi3ELi3EEEJNS0_11LerpFunctorIfEEEEEvT_T0_DpT1_.has_dyn_sized_stack, 0
	.set _ZN2at6native12_GLOBAL__N_125multi_tensor_apply_kernelINS1_18TensorListMetadataILi4EEENS1_20TernaryOpListFunctorIN3c108BFloat16ELi4ELi3ELi3EEEJNS0_11LerpFunctorIfEEEEEvT_T0_DpT1_.has_recursion, 0
	.set _ZN2at6native12_GLOBAL__N_125multi_tensor_apply_kernelINS1_18TensorListMetadataILi4EEENS1_20TernaryOpListFunctorIN3c108BFloat16ELi4ELi3ELi3EEEJNS0_11LerpFunctorIfEEEEEvT_T0_DpT1_.has_indirect_call, 0
	.section	.AMDGPU.csdata,"",@progbits
; Kernel info:
; codeLenInByte = 2696
; TotalNumSgprs: 31
; NumVgprs: 51
; ScratchSize: 0
; MemoryBound: 0
; FloatMode: 240
; IeeeMode: 1
; LDSByteSize: 0 bytes/workgroup (compile time only)
; SGPRBlocks: 3
; VGPRBlocks: 12
; NumSGPRsForWavesPerEU: 31
; NumVGPRsForWavesPerEU: 51
; Occupancy: 4
; WaveLimiterHint : 0
; COMPUTE_PGM_RSRC2:SCRATCH_EN: 0
; COMPUTE_PGM_RSRC2:USER_SGPR: 6
; COMPUTE_PGM_RSRC2:TRAP_HANDLER: 0
; COMPUTE_PGM_RSRC2:TGID_X_EN: 1
; COMPUTE_PGM_RSRC2:TGID_Y_EN: 0
; COMPUTE_PGM_RSRC2:TGID_Z_EN: 0
; COMPUTE_PGM_RSRC2:TIDIG_COMP_CNT: 0
	.section	.text._ZN2at6native12_GLOBAL__N_125multi_tensor_apply_kernelINS1_18TensorListMetadataILi3EEENS1_20TernaryOpListFunctorIdLi3ELi3ELi0EEEJNS0_11LerpFunctorIdEEEEEvT_T0_DpT1_,"axG",@progbits,_ZN2at6native12_GLOBAL__N_125multi_tensor_apply_kernelINS1_18TensorListMetadataILi3EEENS1_20TernaryOpListFunctorIdLi3ELi3ELi0EEEJNS0_11LerpFunctorIdEEEEEvT_T0_DpT1_,comdat
	.globl	_ZN2at6native12_GLOBAL__N_125multi_tensor_apply_kernelINS1_18TensorListMetadataILi3EEENS1_20TernaryOpListFunctorIdLi3ELi3ELi0EEEJNS0_11LerpFunctorIdEEEEEvT_T0_DpT1_ ; -- Begin function _ZN2at6native12_GLOBAL__N_125multi_tensor_apply_kernelINS1_18TensorListMetadataILi3EEENS1_20TernaryOpListFunctorIdLi3ELi3ELi0EEEJNS0_11LerpFunctorIdEEEEEvT_T0_DpT1_
	.p2align	8
	.type	_ZN2at6native12_GLOBAL__N_125multi_tensor_apply_kernelINS1_18TensorListMetadataILi3EEENS1_20TernaryOpListFunctorIdLi3ELi3ELi0EEEJNS0_11LerpFunctorIdEEEEEvT_T0_DpT1_,@function
_ZN2at6native12_GLOBAL__N_125multi_tensor_apply_kernelINS1_18TensorListMetadataILi3EEENS1_20TernaryOpListFunctorIdLi3ELi3ELi0EEEJNS0_11LerpFunctorIdEEEEEvT_T0_DpT1_: ; @_ZN2at6native12_GLOBAL__N_125multi_tensor_apply_kernelINS1_18TensorListMetadataILi3EEENS1_20TernaryOpListFunctorIdLi3ELi3ELi0EEEJNS0_11LerpFunctorIdEEEEEvT_T0_DpT1_
; %bb.0:
	v_mov_b32_e32 v1, s6
	global_load_ubyte v1, v1, s[4:5] offset:1536
	s_add_u32 s0, s4, s6
	s_mul_hi_u32 s1, s6, 3
	s_mul_i32 s6, s6, 3
	s_addc_u32 s2, s5, 0
	s_add_u32 s0, s0, s6
	s_addc_u32 s1, s2, s1
	s_load_dword s10, s[0:1], 0x740
	s_mov_b32 s15, 0
	s_mov_b32 s17, s15
	s_waitcnt lgkmcnt(0)
	s_ashr_i32 s11, s10, 31
	s_lshl_b64 s[8:9], s[10:11], 19
	s_waitcnt vmcnt(0)
	v_readfirstlane_b32 s0, v1
	s_lshl_b32 s12, s0, 3
	s_load_dwordx2 s[6:7], s[4:5], s12 offset:0x0
	s_load_dwordx2 s[18:19], s[4:5], s12 offset:0x480
	;; [unrolled: 1-line block ×4, first 2 shown]
	s_waitcnt lgkmcnt(0)
	s_add_u32 s20, s6, s8
	s_addc_u32 s21, s7, s9
	s_and_b32 s14, s20, 31
	s_add_u32 s22, s2, s8
	s_addc_u32 s23, s3, s9
	s_add_u32 s24, s0, s8
	s_addc_u32 s25, s1, s9
	s_or_b32 s12, s24, s22
	s_and_b32 s12, s12, 31
	s_cmp_lg_u32 s12, 0
	s_cselect_b64 s[26:27], -1, 0
	s_lshl_b64 s[10:11], s[10:11], 16
	s_sub_u32 s12, s18, s10
	s_subb_u32 s13, s19, s11
	s_and_b32 s16, s18, 3
	s_or_b64 s[10:11], s[14:15], s[16:17]
	s_cmp_lg_u64 s[10:11], 0
	s_cselect_b64 s[10:11], -1, 0
	s_or_b64 s[10:11], s[26:27], s[10:11]
	s_andn2_b64 vcc, exec, s[10:11]
	s_mov_b64 s[10:11], -1
	s_cbranch_vccz .LBB6_21
; %bb.1:
	v_mov_b32_e32 v1, 0x10000
	v_mov_b32_e32 v2, 0
	v_cmp_lt_i64_e32 vcc, s[12:13], v[1:2]
	v_mov_b32_e32 v2, 0
	s_and_b64 s[10:11], vcc, exec
	s_cselect_b32 s11, s13, 0
	s_cselect_b32 s10, s12, 0x10000
	v_lshlrev_b32_e32 v1, 2, v0
	v_cmp_gt_i64_e32 vcc, s[10:11], v[1:2]
	s_and_saveexec_b64 s[14:15], vcc
	s_cbranch_execz .LBB6_20
; %bb.2:
	s_load_dword s18, s[4:5], 0xc5c
	v_mov_b32_e32 v1, v2
	v_mov_b32_e32 v30, v1
	v_lshlrev_b32_e32 v33, 5, v0
	s_mov_b64 s[16:17], 0
	s_waitcnt lgkmcnt(0)
	s_and_b32 s26, s18, 0xffff
	s_lshl_b32 s27, s26, 5
	v_mov_b32_e32 v29, v0
	s_branch .LBB6_4
.LBB6_3:                                ;   in Loop: Header=BB6_4 Depth=1
	s_or_b64 exec, exec, s[18:19]
	v_add_co_u32_e32 v29, vcc, s26, v29
	s_add_u32 s24, s24, s27
	v_addc_co_u32_e32 v30, vcc, 0, v30, vcc
	s_addc_u32 s25, s25, 0
	global_store_dwordx4 v[31:32], v[1:4], off
	s_add_u32 s20, s20, s27
	v_lshlrev_b64 v[1:2], 2, v[29:30]
	s_addc_u32 s21, s21, 0
	s_add_u32 s22, s22, s27
	v_cmp_le_i64_e32 vcc, s[10:11], v[1:2]
	s_addc_u32 s23, s23, 0
	s_or_b64 s[16:17], vcc, s[16:17]
	global_store_dwordx4 v[31:32], v[17:20], off offset:16
	s_andn2_b64 exec, exec, s[16:17]
	s_cbranch_execz .LBB6_20
.LBB6_4:                                ; =>This Inner Loop Header: Depth=1
	v_mov_b32_e32 v1, s21
	v_add_co_u32_e32 v31, vcc, s20, v33
	v_addc_co_u32_e32 v32, vcc, 0, v1, vcc
	v_mov_b32_e32 v2, s23
	v_add_co_u32_e32 v1, vcc, s22, v33
	v_addc_co_u32_e32 v2, vcc, 0, v2, vcc
	global_load_dwordx4 v[21:24], v[1:2], off
	v_mov_b32_e32 v4, s25
	v_add_co_u32_e32 v3, vcc, s24, v33
	v_addc_co_u32_e32 v4, vcc, 0, v4, vcc
	global_load_dwordx4 v[17:20], v[3:4], off
	global_load_dwordx4 v[25:28], v[31:32], off
	global_load_dwordx4 v[9:12], v[31:32], off offset:16
	global_load_dwordx4 v[13:16], v[1:2], off offset:16
	;; [unrolled: 1-line block ×3, first 2 shown]
                                        ; implicit-def: $vgpr1_vgpr2
	s_waitcnt vmcnt(4)
	v_cmp_nlt_f64_e64 s[18:19], |v[17:18]|, 0.5
	s_waitcnt vmcnt(3)
	v_add_f64 v[3:4], v[21:22], -v[25:26]
	s_and_saveexec_b64 s[28:29], s[18:19]
	s_xor_b64 s[18:19], exec, s[28:29]
	s_cbranch_execz .LBB6_6
; %bb.5:                                ;   in Loop: Header=BB6_4 Depth=1
	v_add_f64 v[1:2], -v[17:18], 1.0
	v_fma_f64 v[1:2], -v[3:4], v[1:2], v[21:22]
                                        ; implicit-def: $vgpr3_vgpr4
.LBB6_6:                                ;   in Loop: Header=BB6_4 Depth=1
	s_andn2_saveexec_b64 s[18:19], s[18:19]
; %bb.7:                                ;   in Loop: Header=BB6_4 Depth=1
	v_fma_f64 v[1:2], v[3:4], v[17:18], v[25:26]
; %bb.8:                                ;   in Loop: Header=BB6_4 Depth=1
	s_or_b64 exec, exec, s[18:19]
	v_cmp_nlt_f64_e64 s[18:19], |v[19:20]|, 0.5
	v_add_f64 v[17:18], v[23:24], -v[27:28]
	s_and_saveexec_b64 s[28:29], s[18:19]
	s_xor_b64 s[18:19], exec, s[28:29]
	s_cbranch_execz .LBB6_10
; %bb.9:                                ;   in Loop: Header=BB6_4 Depth=1
	v_add_f64 v[3:4], -v[19:20], 1.0
                                        ; implicit-def: $vgpr19_vgpr20
                                        ; implicit-def: $vgpr27_vgpr28
	v_fma_f64 v[3:4], -v[17:18], v[3:4], v[23:24]
                                        ; implicit-def: $vgpr17_vgpr18
.LBB6_10:                               ;   in Loop: Header=BB6_4 Depth=1
	s_andn2_saveexec_b64 s[18:19], s[18:19]
; %bb.11:                               ;   in Loop: Header=BB6_4 Depth=1
	v_fma_f64 v[3:4], v[17:18], v[19:20], v[27:28]
; %bb.12:                               ;   in Loop: Header=BB6_4 Depth=1
	s_or_b64 exec, exec, s[18:19]
	s_waitcnt vmcnt(0)
	v_cmp_nlt_f64_e64 s[18:19], |v[5:6]|, 0.5
	v_add_f64 v[19:20], v[13:14], -v[9:10]
                                        ; implicit-def: $vgpr17_vgpr18
	s_and_saveexec_b64 s[28:29], s[18:19]
	s_xor_b64 s[18:19], exec, s[28:29]
	s_cbranch_execz .LBB6_14
; %bb.13:                               ;   in Loop: Header=BB6_4 Depth=1
	v_add_f64 v[17:18], -v[5:6], 1.0
	v_fma_f64 v[17:18], -v[19:20], v[17:18], v[13:14]
                                        ; implicit-def: $vgpr19_vgpr20
.LBB6_14:                               ;   in Loop: Header=BB6_4 Depth=1
	s_andn2_saveexec_b64 s[18:19], s[18:19]
; %bb.15:                               ;   in Loop: Header=BB6_4 Depth=1
	v_fma_f64 v[17:18], v[19:20], v[5:6], v[9:10]
; %bb.16:                               ;   in Loop: Header=BB6_4 Depth=1
	s_or_b64 exec, exec, s[18:19]
	v_cmp_nlt_f64_e64 s[18:19], |v[7:8]|, 0.5
	v_add_f64 v[5:6], v[15:16], -v[11:12]
	s_and_saveexec_b64 s[28:29], s[18:19]
	s_xor_b64 s[18:19], exec, s[28:29]
	s_cbranch_execz .LBB6_18
; %bb.17:                               ;   in Loop: Header=BB6_4 Depth=1
	v_add_f64 v[7:8], -v[7:8], 1.0
                                        ; implicit-def: $vgpr11_vgpr12
	v_fma_f64 v[19:20], -v[5:6], v[7:8], v[15:16]
                                        ; implicit-def: $vgpr5_vgpr6
                                        ; implicit-def: $vgpr7_vgpr8
.LBB6_18:                               ;   in Loop: Header=BB6_4 Depth=1
	s_andn2_saveexec_b64 s[18:19], s[18:19]
	s_cbranch_execz .LBB6_3
; %bb.19:                               ;   in Loop: Header=BB6_4 Depth=1
	v_fma_f64 v[19:20], v[5:6], v[7:8], v[11:12]
	s_branch .LBB6_3
.LBB6_20:
	s_or_b64 exec, exec, s[14:15]
	s_mov_b64 s[10:11], 0
.LBB6_21:
	s_andn2_b64 vcc, exec, s[10:11]
	s_cbranch_vccnz .LBB6_65
; %bb.22:
	v_cmp_lt_i64_e64 s[10:11], s[12:13], 1
	s_and_b64 vcc, exec, s[10:11]
	s_cbranch_vccnz .LBB6_65
; %bb.23:
	v_mov_b32_e32 v1, 0x10000
	s_load_dword s14, s[4:5], 0xc5c
	v_mov_b32_e32 v2, 0
	v_cmp_lt_i64_e32 vcc, s[12:13], v[1:2]
	v_mov_b32_e32 v3, 0
	s_and_b64 s[4:5], vcc, exec
	s_cselect_b32 s11, s13, 0
	s_cselect_b32 s10, s12, 0x10000
	v_cmp_lt_u64_e32 vcc, s[12:13], v[1:2]
	s_waitcnt lgkmcnt(0)
	s_and_b32 s14, s14, 0xffff
	v_lshlrev_b32_e32 v2, 3, v0
	v_mad_u64_u32 v[3:4], s[4:5], s14, 24, v[2:3]
	s_and_b64 s[4:5], vcc, exec
	v_mov_b32_e32 v7, s7
	v_add_co_u32_e32 v29, vcc, s6, v3
	v_addc_co_u32_e32 v30, vcc, v7, v4, vcc
	v_mov_b32_e32 v7, s3
	v_add_co_u32_e32 v31, vcc, s2, v3
	v_addc_co_u32_e32 v32, vcc, v7, v4, vcc
	v_mov_b32_e32 v7, s1
	v_add_co_u32_e32 v33, vcc, s0, v3
	s_cselect_b32 s13, s13, 0
	s_cselect_b32 s12, s12, 0x10000
	v_addc_co_u32_e32 v34, vcc, v7, v4, vcc
	s_lshl_b32 s4, s14, 4
	v_add_co_u32_e32 v3, vcc, s4, v2
	v_addc_co_u32_e64 v4, s[4:5], 0, 0, vcc
	v_mov_b32_e32 v7, s7
	v_add_co_u32_e32 v35, vcc, s6, v3
	v_addc_co_u32_e32 v36, vcc, v7, v4, vcc
	v_mov_b32_e32 v7, s3
	v_add_co_u32_e32 v37, vcc, s2, v3
	v_addc_co_u32_e32 v38, vcc, v7, v4, vcc
	;; [unrolled: 3-line block ×6, first 2 shown]
	v_add_co_u32_e32 v47, vcc, s14, v0
	v_lshlrev_b32_e32 v1, 3, v47
	v_addc_co_u32_e64 v48, s[4:5], 0, 0, vcc
	v_mov_b32_e32 v2, s7
	v_add_co_u32_e32 v49, vcc, s6, v1
	v_addc_co_u32_e32 v50, vcc, 0, v2, vcc
	v_mov_b32_e32 v2, s3
	v_add_co_u32_e32 v51, vcc, s2, v1
	v_addc_co_u32_e32 v52, vcc, 0, v2, vcc
	v_mov_b32_e32 v2, s1
	v_add_co_u32_e32 v53, vcc, s0, v1
	s_mul_i32 s17, s14, 3
	v_addc_co_u32_e32 v54, vcc, 0, v2, vcc
	s_lshl_b32 s16, s14, 1
	v_add_co_u32_e32 v55, vcc, s17, v0
	v_addc_co_u32_e64 v56, s[0:1], 0, 0, vcc
	v_add_co_u32_e32 v57, vcc, s16, v0
	s_lshl_b32 s18, s14, 2
	s_lshl_b32 s19, s14, 5
	s_mov_b64 s[14:15], 0
	v_addc_co_u32_e64 v58, s[0:1], 0, 0, vcc
	s_branch .LBB6_25
.LBB6_24:                               ;   in Loop: Header=BB6_25 Depth=1
	s_or_b64 exec, exec, s[0:1]
	v_add_co_u32_e32 v41, vcc, s19, v41
	v_addc_co_u32_e32 v42, vcc, 0, v42, vcc
	v_add_co_u32_e32 v43, vcc, s19, v43
	v_addc_co_u32_e32 v44, vcc, 0, v44, vcc
	;; [unrolled: 2-line block ×10, first 2 shown]
	s_add_u32 s14, s14, s18
	v_add_co_u32_e32 v51, vcc, s19, v51
	v_mov_b32_e32 v1, s10
	s_addc_u32 s15, s15, 0
	v_addc_co_u32_e32 v52, vcc, 0, v52, vcc
	v_mov_b32_e32 v2, s11
	v_cmp_ge_i64_e32 vcc, s[14:15], v[1:2]
	v_add_co_u32_e64 v53, s[0:1], s19, v53
	v_addc_co_u32_e64 v54, s[0:1], 0, v54, s[0:1]
	s_cbranch_vccnz .LBB6_65
.LBB6_25:                               ; =>This Inner Loop Header: Depth=1
	v_mov_b32_e32 v2, s15
	v_add_co_u32_e32 v1, vcc, s14, v0
	v_addc_co_u32_e32 v2, vcc, 0, v2, vcc
	v_cmp_gt_u64_e32 vcc, s[12:13], v[1:2]
	v_mov_b32_e32 v1, 0
	v_mov_b32_e32 v7, 0
	v_mov_b32_e32 v3, 0
	v_mov_b32_e32 v2, 0
	v_mov_b32_e32 v8, 0
	v_mov_b32_e32 v4, 0
	s_and_saveexec_b64 s[2:3], vcc
	s_cbranch_execz .LBB6_27
; %bb.26:                               ;   in Loop: Header=BB6_25 Depth=1
	v_mov_b32_e32 v3, s9
	v_add_co_u32_e64 v5, s[0:1], s8, v43
	v_addc_co_u32_e64 v6, s[0:1], v44, v3, s[0:1]
	v_add_co_u32_e64 v9, s[0:1], s8, v41
	v_addc_co_u32_e64 v10, s[0:1], v42, v3, s[0:1]
	global_load_dwordx2 v[3:4], v[9:10], off
	global_load_dwordx2 v[7:8], v[5:6], off
.LBB6_27:                               ;   in Loop: Header=BB6_25 Depth=1
	s_or_b64 exec, exec, s[2:3]
	s_and_saveexec_b64 s[2:3], vcc
	s_cbranch_execz .LBB6_29
; %bb.28:                               ;   in Loop: Header=BB6_25 Depth=1
	v_mov_b32_e32 v2, s9
	v_add_co_u32_e64 v1, s[0:1], s8, v45
	v_addc_co_u32_e64 v2, s[0:1], v46, v2, s[0:1]
	global_load_dwordx2 v[1:2], v[1:2], off
.LBB6_29:                               ;   in Loop: Header=BB6_25 Depth=1
	s_or_b64 exec, exec, s[2:3]
	v_mov_b32_e32 v6, s15
	v_add_co_u32_e64 v5, s[0:1], s14, v47
	v_addc_co_u32_e64 v6, s[0:1], v48, v6, s[0:1]
	v_cmp_gt_u64_e64 s[0:1], s[12:13], v[5:6]
	v_mov_b32_e32 v5, 0
	v_mov_b32_e32 v13, 0
	v_mov_b32_e32 v9, 0
	v_mov_b32_e32 v6, 0
	v_mov_b32_e32 v14, 0
	v_mov_b32_e32 v10, 0
	s_and_saveexec_b64 s[4:5], s[0:1]
	s_cbranch_execz .LBB6_31
; %bb.30:                               ;   in Loop: Header=BB6_25 Depth=1
	v_mov_b32_e32 v9, s9
	v_add_co_u32_e64 v11, s[2:3], s8, v51
	v_addc_co_u32_e64 v12, s[2:3], v52, v9, s[2:3]
	v_add_co_u32_e64 v15, s[2:3], s8, v49
	v_addc_co_u32_e64 v16, s[2:3], v50, v9, s[2:3]
	global_load_dwordx2 v[9:10], v[15:16], off
	global_load_dwordx2 v[13:14], v[11:12], off
.LBB6_31:                               ;   in Loop: Header=BB6_25 Depth=1
	s_or_b64 exec, exec, s[4:5]
	s_and_saveexec_b64 s[4:5], s[0:1]
	s_cbranch_execz .LBB6_33
; %bb.32:                               ;   in Loop: Header=BB6_25 Depth=1
	v_mov_b32_e32 v6, s9
	v_add_co_u32_e64 v5, s[2:3], s8, v53
	v_addc_co_u32_e64 v6, s[2:3], v54, v6, s[2:3]
	global_load_dwordx2 v[5:6], v[5:6], off
.LBB6_33:                               ;   in Loop: Header=BB6_25 Depth=1
	s_or_b64 exec, exec, s[4:5]
	v_mov_b32_e32 v12, s15
	v_add_co_u32_e64 v11, s[2:3], s14, v57
	v_addc_co_u32_e64 v12, s[2:3], v58, v12, s[2:3]
	v_cmp_gt_u64_e64 s[2:3], s[12:13], v[11:12]
	v_mov_b32_e32 v11, 0
	v_mov_b32_e32 v19, 0
	v_mov_b32_e32 v15, 0
	v_mov_b32_e32 v12, 0
	v_mov_b32_e32 v20, 0
	v_mov_b32_e32 v16, 0
	s_and_saveexec_b64 s[6:7], s[2:3]
	s_cbranch_execz .LBB6_35
; %bb.34:                               ;   in Loop: Header=BB6_25 Depth=1
	v_mov_b32_e32 v15, s9
	v_add_co_u32_e64 v17, s[4:5], s8, v37
	v_addc_co_u32_e64 v18, s[4:5], v38, v15, s[4:5]
	v_add_co_u32_e64 v21, s[4:5], s8, v35
	v_addc_co_u32_e64 v22, s[4:5], v36, v15, s[4:5]
	global_load_dwordx2 v[15:16], v[21:22], off
	global_load_dwordx2 v[19:20], v[17:18], off
.LBB6_35:                               ;   in Loop: Header=BB6_25 Depth=1
	s_or_b64 exec, exec, s[6:7]
	s_and_saveexec_b64 s[6:7], s[2:3]
	;; [unrolled: 31-line block ×3, first 2 shown]
	s_cbranch_execz .LBB6_41
; %bb.40:                               ;   in Loop: Header=BB6_25 Depth=1
	v_mov_b32_e32 v18, s9
	v_add_co_u32_e64 v17, s[6:7], s8, v33
	v_addc_co_u32_e64 v18, s[6:7], v34, v18, s[6:7]
	global_load_dwordx2 v[17:18], v[17:18], off
.LBB6_41:                               ;   in Loop: Header=BB6_25 Depth=1
	s_or_b64 exec, exec, s[16:17]
	s_waitcnt vmcnt(0)
	v_cmp_nlt_f64_e64 s[6:7], |v[1:2]|, 0.5
	v_add_f64 v[27:28], v[7:8], -v[3:4]
                                        ; implicit-def: $vgpr25_vgpr26
	s_and_saveexec_b64 s[16:17], s[6:7]
	s_xor_b64 s[6:7], exec, s[16:17]
	s_cbranch_execz .LBB6_43
; %bb.42:                               ;   in Loop: Header=BB6_25 Depth=1
	v_add_f64 v[1:2], -v[1:2], 1.0
                                        ; implicit-def: $vgpr3_vgpr4
	v_fma_f64 v[25:26], -v[27:28], v[1:2], v[7:8]
                                        ; implicit-def: $vgpr27_vgpr28
                                        ; implicit-def: $vgpr1_vgpr2
.LBB6_43:                               ;   in Loop: Header=BB6_25 Depth=1
	s_andn2_saveexec_b64 s[6:7], s[6:7]
; %bb.44:                               ;   in Loop: Header=BB6_25 Depth=1
	v_fma_f64 v[25:26], v[27:28], v[1:2], v[3:4]
; %bb.45:                               ;   in Loop: Header=BB6_25 Depth=1
	s_or_b64 exec, exec, s[6:7]
	v_cmp_nlt_f64_e64 s[6:7], |v[5:6]|, 0.5
	v_add_f64 v[3:4], v[13:14], -v[9:10]
                                        ; implicit-def: $vgpr1_vgpr2
	s_and_saveexec_b64 s[16:17], s[6:7]
	s_xor_b64 s[6:7], exec, s[16:17]
	s_cbranch_execz .LBB6_47
; %bb.46:                               ;   in Loop: Header=BB6_25 Depth=1
	v_add_f64 v[1:2], -v[5:6], 1.0
                                        ; implicit-def: $vgpr5_vgpr6
                                        ; implicit-def: $vgpr9_vgpr10
	v_fma_f64 v[1:2], -v[3:4], v[1:2], v[13:14]
                                        ; implicit-def: $vgpr3_vgpr4
.LBB6_47:                               ;   in Loop: Header=BB6_25 Depth=1
	s_andn2_saveexec_b64 s[6:7], s[6:7]
; %bb.48:                               ;   in Loop: Header=BB6_25 Depth=1
	v_fma_f64 v[1:2], v[3:4], v[5:6], v[9:10]
; %bb.49:                               ;   in Loop: Header=BB6_25 Depth=1
	s_or_b64 exec, exec, s[6:7]
	v_cmp_nlt_f64_e64 s[6:7], |v[11:12]|, 0.5
	v_add_f64 v[5:6], v[19:20], -v[15:16]
                                        ; implicit-def: $vgpr3_vgpr4
	s_and_saveexec_b64 s[16:17], s[6:7]
	s_xor_b64 s[6:7], exec, s[16:17]
	s_cbranch_execz .LBB6_51
; %bb.50:                               ;   in Loop: Header=BB6_25 Depth=1
	v_add_f64 v[3:4], -v[11:12], 1.0
                                        ; implicit-def: $vgpr11_vgpr12
                                        ; implicit-def: $vgpr15_vgpr16
	v_fma_f64 v[3:4], -v[5:6], v[3:4], v[19:20]
                                        ; implicit-def: $vgpr5_vgpr6
.LBB6_51:                               ;   in Loop: Header=BB6_25 Depth=1
	s_andn2_saveexec_b64 s[6:7], s[6:7]
; %bb.52:                               ;   in Loop: Header=BB6_25 Depth=1
	v_fma_f64 v[3:4], v[5:6], v[11:12], v[15:16]
; %bb.53:                               ;   in Loop: Header=BB6_25 Depth=1
	s_or_b64 exec, exec, s[6:7]
	v_cmp_nlt_f64_e64 s[6:7], |v[17:18]|, 0.5
	v_add_f64 v[7:8], v[23:24], -v[21:22]
                                        ; implicit-def: $vgpr5_vgpr6
	s_and_saveexec_b64 s[16:17], s[6:7]
	s_xor_b64 s[6:7], exec, s[16:17]
	s_cbranch_execnz .LBB6_59
; %bb.54:                               ;   in Loop: Header=BB6_25 Depth=1
	s_andn2_saveexec_b64 s[6:7], s[6:7]
	s_cbranch_execnz .LBB6_60
.LBB6_55:                               ;   in Loop: Header=BB6_25 Depth=1
	s_or_b64 exec, exec, s[6:7]
	s_and_saveexec_b64 s[6:7], vcc
	s_xor_b64 s[6:7], exec, s[6:7]
	s_cbranch_execnz .LBB6_61
.LBB6_56:                               ;   in Loop: Header=BB6_25 Depth=1
	s_or_b64 exec, exec, s[6:7]
	s_and_saveexec_b64 s[6:7], s[0:1]
	s_cbranch_execnz .LBB6_62
.LBB6_57:                               ;   in Loop: Header=BB6_25 Depth=1
	s_or_b64 exec, exec, s[6:7]
	s_and_saveexec_b64 s[0:1], s[2:3]
	s_cbranch_execnz .LBB6_63
.LBB6_58:                               ;   in Loop: Header=BB6_25 Depth=1
	s_or_b64 exec, exec, s[0:1]
	s_and_saveexec_b64 s[0:1], s[4:5]
	s_cbranch_execz .LBB6_24
	s_branch .LBB6_64
.LBB6_59:                               ;   in Loop: Header=BB6_25 Depth=1
	v_add_f64 v[5:6], -v[17:18], 1.0
                                        ; implicit-def: $vgpr17_vgpr18
                                        ; implicit-def: $vgpr21_vgpr22
	v_fma_f64 v[5:6], -v[7:8], v[5:6], v[23:24]
                                        ; implicit-def: $vgpr7_vgpr8
	s_andn2_saveexec_b64 s[6:7], s[6:7]
	s_cbranch_execz .LBB6_55
.LBB6_60:                               ;   in Loop: Header=BB6_25 Depth=1
	v_fma_f64 v[5:6], v[7:8], v[17:18], v[21:22]
	s_or_b64 exec, exec, s[6:7]
	s_and_saveexec_b64 s[6:7], vcc
	s_xor_b64 s[6:7], exec, s[6:7]
	s_cbranch_execz .LBB6_56
.LBB6_61:                               ;   in Loop: Header=BB6_25 Depth=1
	v_mov_b32_e32 v8, s9
	v_add_co_u32_e32 v7, vcc, s8, v41
	v_addc_co_u32_e32 v8, vcc, v42, v8, vcc
	global_store_dwordx2 v[7:8], v[25:26], off
	s_or_b64 exec, exec, s[6:7]
	s_and_saveexec_b64 s[6:7], s[0:1]
	s_cbranch_execz .LBB6_57
.LBB6_62:                               ;   in Loop: Header=BB6_25 Depth=1
	v_mov_b32_e32 v8, s9
	v_add_co_u32_e32 v7, vcc, s8, v49
	v_addc_co_u32_e32 v8, vcc, v50, v8, vcc
	global_store_dwordx2 v[7:8], v[1:2], off
	s_or_b64 exec, exec, s[6:7]
	s_and_saveexec_b64 s[0:1], s[2:3]
	s_cbranch_execz .LBB6_58
.LBB6_63:                               ;   in Loop: Header=BB6_25 Depth=1
	v_mov_b32_e32 v2, s9
	v_add_co_u32_e32 v1, vcc, s8, v35
	v_addc_co_u32_e32 v2, vcc, v36, v2, vcc
	global_store_dwordx2 v[1:2], v[3:4], off
	s_or_b64 exec, exec, s[0:1]
	s_and_saveexec_b64 s[0:1], s[4:5]
	s_cbranch_execz .LBB6_24
.LBB6_64:                               ;   in Loop: Header=BB6_25 Depth=1
	v_mov_b32_e32 v2, s9
	v_add_co_u32_e32 v1, vcc, s8, v29
	v_addc_co_u32_e32 v2, vcc, v30, v2, vcc
	global_store_dwordx2 v[1:2], v[5:6], off
	s_branch .LBB6_24
.LBB6_65:
	s_endpgm
	.section	.rodata,"a",@progbits
	.p2align	6, 0x0
	.amdhsa_kernel _ZN2at6native12_GLOBAL__N_125multi_tensor_apply_kernelINS1_18TensorListMetadataILi3EEENS1_20TernaryOpListFunctorIdLi3ELi3ELi0EEEJNS0_11LerpFunctorIdEEEEEvT_T0_DpT1_
		.amdhsa_group_segment_fixed_size 0
		.amdhsa_private_segment_fixed_size 0
		.amdhsa_kernarg_size 3408
		.amdhsa_user_sgpr_count 6
		.amdhsa_user_sgpr_private_segment_buffer 1
		.amdhsa_user_sgpr_dispatch_ptr 0
		.amdhsa_user_sgpr_queue_ptr 0
		.amdhsa_user_sgpr_kernarg_segment_ptr 1
		.amdhsa_user_sgpr_dispatch_id 0
		.amdhsa_user_sgpr_flat_scratch_init 0
		.amdhsa_user_sgpr_private_segment_size 0
		.amdhsa_uses_dynamic_stack 0
		.amdhsa_system_sgpr_private_segment_wavefront_offset 0
		.amdhsa_system_sgpr_workgroup_id_x 1
		.amdhsa_system_sgpr_workgroup_id_y 0
		.amdhsa_system_sgpr_workgroup_id_z 0
		.amdhsa_system_sgpr_workgroup_info 0
		.amdhsa_system_vgpr_workitem_id 0
		.amdhsa_next_free_vgpr 59
		.amdhsa_next_free_sgpr 30
		.amdhsa_reserve_vcc 1
		.amdhsa_reserve_flat_scratch 0
		.amdhsa_float_round_mode_32 0
		.amdhsa_float_round_mode_16_64 0
		.amdhsa_float_denorm_mode_32 3
		.amdhsa_float_denorm_mode_16_64 3
		.amdhsa_dx10_clamp 1
		.amdhsa_ieee_mode 1
		.amdhsa_fp16_overflow 0
		.amdhsa_exception_fp_ieee_invalid_op 0
		.amdhsa_exception_fp_denorm_src 0
		.amdhsa_exception_fp_ieee_div_zero 0
		.amdhsa_exception_fp_ieee_overflow 0
		.amdhsa_exception_fp_ieee_underflow 0
		.amdhsa_exception_fp_ieee_inexact 0
		.amdhsa_exception_int_div_zero 0
	.end_amdhsa_kernel
	.section	.text._ZN2at6native12_GLOBAL__N_125multi_tensor_apply_kernelINS1_18TensorListMetadataILi3EEENS1_20TernaryOpListFunctorIdLi3ELi3ELi0EEEJNS0_11LerpFunctorIdEEEEEvT_T0_DpT1_,"axG",@progbits,_ZN2at6native12_GLOBAL__N_125multi_tensor_apply_kernelINS1_18TensorListMetadataILi3EEENS1_20TernaryOpListFunctorIdLi3ELi3ELi0EEEJNS0_11LerpFunctorIdEEEEEvT_T0_DpT1_,comdat
.Lfunc_end6:
	.size	_ZN2at6native12_GLOBAL__N_125multi_tensor_apply_kernelINS1_18TensorListMetadataILi3EEENS1_20TernaryOpListFunctorIdLi3ELi3ELi0EEEJNS0_11LerpFunctorIdEEEEEvT_T0_DpT1_, .Lfunc_end6-_ZN2at6native12_GLOBAL__N_125multi_tensor_apply_kernelINS1_18TensorListMetadataILi3EEENS1_20TernaryOpListFunctorIdLi3ELi3ELi0EEEJNS0_11LerpFunctorIdEEEEEvT_T0_DpT1_
                                        ; -- End function
	.set _ZN2at6native12_GLOBAL__N_125multi_tensor_apply_kernelINS1_18TensorListMetadataILi3EEENS1_20TernaryOpListFunctorIdLi3ELi3ELi0EEEJNS0_11LerpFunctorIdEEEEEvT_T0_DpT1_.num_vgpr, 59
	.set _ZN2at6native12_GLOBAL__N_125multi_tensor_apply_kernelINS1_18TensorListMetadataILi3EEENS1_20TernaryOpListFunctorIdLi3ELi3ELi0EEEJNS0_11LerpFunctorIdEEEEEvT_T0_DpT1_.num_agpr, 0
	.set _ZN2at6native12_GLOBAL__N_125multi_tensor_apply_kernelINS1_18TensorListMetadataILi3EEENS1_20TernaryOpListFunctorIdLi3ELi3ELi0EEEJNS0_11LerpFunctorIdEEEEEvT_T0_DpT1_.numbered_sgpr, 30
	.set _ZN2at6native12_GLOBAL__N_125multi_tensor_apply_kernelINS1_18TensorListMetadataILi3EEENS1_20TernaryOpListFunctorIdLi3ELi3ELi0EEEJNS0_11LerpFunctorIdEEEEEvT_T0_DpT1_.num_named_barrier, 0
	.set _ZN2at6native12_GLOBAL__N_125multi_tensor_apply_kernelINS1_18TensorListMetadataILi3EEENS1_20TernaryOpListFunctorIdLi3ELi3ELi0EEEJNS0_11LerpFunctorIdEEEEEvT_T0_DpT1_.private_seg_size, 0
	.set _ZN2at6native12_GLOBAL__N_125multi_tensor_apply_kernelINS1_18TensorListMetadataILi3EEENS1_20TernaryOpListFunctorIdLi3ELi3ELi0EEEJNS0_11LerpFunctorIdEEEEEvT_T0_DpT1_.uses_vcc, 1
	.set _ZN2at6native12_GLOBAL__N_125multi_tensor_apply_kernelINS1_18TensorListMetadataILi3EEENS1_20TernaryOpListFunctorIdLi3ELi3ELi0EEEJNS0_11LerpFunctorIdEEEEEvT_T0_DpT1_.uses_flat_scratch, 0
	.set _ZN2at6native12_GLOBAL__N_125multi_tensor_apply_kernelINS1_18TensorListMetadataILi3EEENS1_20TernaryOpListFunctorIdLi3ELi3ELi0EEEJNS0_11LerpFunctorIdEEEEEvT_T0_DpT1_.has_dyn_sized_stack, 0
	.set _ZN2at6native12_GLOBAL__N_125multi_tensor_apply_kernelINS1_18TensorListMetadataILi3EEENS1_20TernaryOpListFunctorIdLi3ELi3ELi0EEEJNS0_11LerpFunctorIdEEEEEvT_T0_DpT1_.has_recursion, 0
	.set _ZN2at6native12_GLOBAL__N_125multi_tensor_apply_kernelINS1_18TensorListMetadataILi3EEENS1_20TernaryOpListFunctorIdLi3ELi3ELi0EEEJNS0_11LerpFunctorIdEEEEEvT_T0_DpT1_.has_indirect_call, 0
	.section	.AMDGPU.csdata,"",@progbits
; Kernel info:
; codeLenInByte = 2252
; TotalNumSgprs: 34
; NumVgprs: 59
; ScratchSize: 0
; MemoryBound: 1
; FloatMode: 240
; IeeeMode: 1
; LDSByteSize: 0 bytes/workgroup (compile time only)
; SGPRBlocks: 4
; VGPRBlocks: 14
; NumSGPRsForWavesPerEU: 34
; NumVGPRsForWavesPerEU: 59
; Occupancy: 4
; WaveLimiterHint : 0
; COMPUTE_PGM_RSRC2:SCRATCH_EN: 0
; COMPUTE_PGM_RSRC2:USER_SGPR: 6
; COMPUTE_PGM_RSRC2:TRAP_HANDLER: 0
; COMPUTE_PGM_RSRC2:TGID_X_EN: 1
; COMPUTE_PGM_RSRC2:TGID_Y_EN: 0
; COMPUTE_PGM_RSRC2:TGID_Z_EN: 0
; COMPUTE_PGM_RSRC2:TIDIG_COMP_CNT: 0
	.section	.text._ZN2at6native12_GLOBAL__N_125multi_tensor_apply_kernelINS1_18TensorListMetadataILi3EEENS1_20TernaryOpListFunctorIfLi3ELi3ELi0EEEJNS0_11LerpFunctorIfEEEEEvT_T0_DpT1_,"axG",@progbits,_ZN2at6native12_GLOBAL__N_125multi_tensor_apply_kernelINS1_18TensorListMetadataILi3EEENS1_20TernaryOpListFunctorIfLi3ELi3ELi0EEEJNS0_11LerpFunctorIfEEEEEvT_T0_DpT1_,comdat
	.globl	_ZN2at6native12_GLOBAL__N_125multi_tensor_apply_kernelINS1_18TensorListMetadataILi3EEENS1_20TernaryOpListFunctorIfLi3ELi3ELi0EEEJNS0_11LerpFunctorIfEEEEEvT_T0_DpT1_ ; -- Begin function _ZN2at6native12_GLOBAL__N_125multi_tensor_apply_kernelINS1_18TensorListMetadataILi3EEENS1_20TernaryOpListFunctorIfLi3ELi3ELi0EEEJNS0_11LerpFunctorIfEEEEEvT_T0_DpT1_
	.p2align	8
	.type	_ZN2at6native12_GLOBAL__N_125multi_tensor_apply_kernelINS1_18TensorListMetadataILi3EEENS1_20TernaryOpListFunctorIfLi3ELi3ELi0EEEJNS0_11LerpFunctorIfEEEEEvT_T0_DpT1_,@function
_ZN2at6native12_GLOBAL__N_125multi_tensor_apply_kernelINS1_18TensorListMetadataILi3EEENS1_20TernaryOpListFunctorIfLi3ELi3ELi0EEEJNS0_11LerpFunctorIfEEEEEvT_T0_DpT1_: ; @_ZN2at6native12_GLOBAL__N_125multi_tensor_apply_kernelINS1_18TensorListMetadataILi3EEENS1_20TernaryOpListFunctorIfLi3ELi3ELi0EEEJNS0_11LerpFunctorIfEEEEEvT_T0_DpT1_
; %bb.0:
	v_mov_b32_e32 v1, s6
	global_load_ubyte v1, v1, s[4:5] offset:1536
	s_add_u32 s0, s4, s6
	s_mul_hi_u32 s1, s6, 3
	s_mul_i32 s6, s6, 3
	s_addc_u32 s2, s5, 0
	s_add_u32 s0, s0, s6
	s_addc_u32 s1, s2, s1
	s_load_dword s0, s[0:1], 0x740
	s_mov_b32 s3, 0
	s_mov_b32 s7, s3
	s_waitcnt lgkmcnt(0)
	s_ashr_i32 s1, s0, 31
	s_lshl_b64 s[8:9], s[0:1], 18
	s_waitcnt vmcnt(0)
	v_readfirstlane_b32 s2, v1
	s_lshl_b32 s2, s2, 3
	s_load_dwordx2 s[18:19], s[4:5], s2 offset:0x0
	s_load_dwordx2 s[10:11], s[4:5], s2 offset:0x480
	;; [unrolled: 1-line block ×4, first 2 shown]
	s_waitcnt lgkmcnt(0)
	s_add_u32 s24, s18, s8
	s_addc_u32 s25, s19, s9
	s_and_b32 s2, s24, 15
	s_add_u32 s26, s16, s8
	s_addc_u32 s27, s17, s9
	s_add_u32 s28, s14, s8
	s_addc_u32 s29, s15, s9
	s_or_b32 s6, s28, s26
	s_and_b32 s6, s6, 15
	s_cmp_lg_u32 s6, 0
	s_cselect_b64 s[20:21], -1, 0
	s_lshl_b64 s[0:1], s[0:1], 16
	s_sub_u32 s12, s10, s0
	s_subb_u32 s13, s11, s1
	s_and_b32 s6, s10, 3
	s_or_b64 s[0:1], s[2:3], s[6:7]
	s_cmp_lg_u64 s[0:1], 0
	s_cselect_b64 s[0:1], -1, 0
	s_or_b64 s[0:1], s[20:21], s[0:1]
	s_andn2_b64 vcc, exec, s[0:1]
	s_mov_b64 s[0:1], -1
	s_cbranch_vccz .LBB7_5
; %bb.1:
	v_mov_b32_e32 v1, 0x10000
	v_mov_b32_e32 v2, 0
	v_cmp_lt_i64_e32 vcc, s[12:13], v[1:2]
	v_mov_b32_e32 v2, 0
	s_and_b64 s[0:1], vcc, exec
	s_cselect_b32 s11, s13, 0
	s_cselect_b32 s10, s12, 0x10000
	v_lshlrev_b32_e32 v1, 2, v0
	v_cmp_gt_i64_e32 vcc, s[10:11], v[1:2]
	s_and_saveexec_b64 s[20:21], vcc
	s_cbranch_execz .LBB7_4
; %bb.2:
	s_load_dword s0, s[4:5], 0xc5c
	v_mov_b32_e32 v1, v2
	v_mov_b32_e32 v2, v1
	v_lshlrev_b32_e32 v3, 4, v0
	s_mov_b64 s[22:23], 0
	s_waitcnt lgkmcnt(0)
	s_and_b32 s30, s0, 0xffff
	s_lshl_b32 s31, s30, 4
	v_mov_b32_e32 v1, v0
.LBB7_3:                                ; =>This Inner Loop Header: Depth=1
	v_mov_b32_e32 v4, s25
	v_add_co_u32_e64 v20, s[2:3], s24, v3
	v_mov_b32_e32 v5, s27
	v_add_co_u32_e32 v16, vcc, s26, v3
	v_mov_b32_e32 v6, s29
	v_add_co_u32_e64 v18, s[0:1], s28, v3
	v_addc_co_u32_e64 v21, s[2:3], 0, v4, s[2:3]
	v_addc_co_u32_e32 v17, vcc, 0, v5, vcc
	v_addc_co_u32_e64 v19, vcc, 0, v6, s[0:1]
	global_load_dwordx4 v[4:7], v[20:21], off
	global_load_dwordx4 v[8:11], v[16:17], off
	;; [unrolled: 1-line block ×3, first 2 shown]
	v_add_co_u32_e32 v1, vcc, s30, v1
	s_add_u32 s28, s28, s31
	v_addc_co_u32_e32 v2, vcc, 0, v2, vcc
	s_addc_u32 s29, s29, 0
	v_lshlrev_b64 v[16:17], 2, v[1:2]
	s_add_u32 s24, s24, s31
	s_addc_u32 s25, s25, 0
	v_cmp_le_i64_e32 vcc, s[10:11], v[16:17]
	s_add_u32 s26, s26, s31
	s_addc_u32 s27, s27, 0
	s_or_b64 s[22:23], vcc, s[22:23]
	s_waitcnt vmcnt(1)
	v_sub_f32_e32 v16, v8, v4
	s_waitcnt vmcnt(0)
	v_sub_f32_e32 v17, 1.0, v12
	v_sub_f32_e32 v18, v9, v5
	v_sub_f32_e32 v19, 1.0, v13
	v_sub_f32_e32 v22, v10, v6
	;; [unrolled: 2-line block ×3, first 2 shown]
	v_sub_f32_e32 v25, 1.0, v15
	v_fma_f32 v4, v16, v12, v4
	v_fma_f32 v8, -v16, v17, v8
	v_fma_f32 v5, v18, v13, v5
	v_fma_f32 v9, -v18, v19, v9
	v_cmp_lt_f32_e64 vcc, |v13|, 0.5
	v_fma_f32 v6, v22, v14, v6
	v_fma_f32 v10, -v22, v23, v10
	v_cmp_lt_f32_e64 s[0:1], |v14|, 0.5
	v_fmac_f32_e32 v7, v24, v15
	v_fma_f32 v11, -v24, v25, v11
	v_cmp_lt_f32_e64 s[2:3], |v15|, 0.5
	v_cmp_lt_f32_e64 s[6:7], |v12|, 0.5
	v_cndmask_b32_e64 v4, v8, v4, s[6:7]
	v_cndmask_b32_e32 v5, v9, v5, vcc
	v_cndmask_b32_e64 v6, v10, v6, s[0:1]
	v_cndmask_b32_e64 v7, v11, v7, s[2:3]
	global_store_dwordx4 v[20:21], v[4:7], off
	s_andn2_b64 exec, exec, s[22:23]
	s_cbranch_execnz .LBB7_3
.LBB7_4:
	s_or_b64 exec, exec, s[20:21]
	s_mov_b64 s[0:1], 0
.LBB7_5:
	s_andn2_b64 vcc, exec, s[0:1]
	s_cbranch_vccnz .LBB7_33
; %bb.6:
	v_cmp_lt_i64_e64 s[0:1], s[12:13], 1
	s_and_b64 vcc, exec, s[0:1]
	s_cbranch_vccnz .LBB7_33
; %bb.7:
	v_mov_b32_e32 v1, 0x10000
	s_load_dword s2, s[4:5], 0xc5c
	v_mov_b32_e32 v2, 0
	v_cmp_lt_i64_e32 vcc, s[12:13], v[1:2]
	v_mov_b32_e32 v18, 0
	s_and_b64 s[0:1], vcc, exec
	s_cselect_b32 s11, s13, 0
	s_cselect_b32 s10, s12, 0x10000
	s_waitcnt lgkmcnt(0)
	s_and_b32 s2, s2, 0xffff
	v_lshlrev_b32_e32 v17, 2, v0
	v_mad_u64_u32 v[5:6], s[0:1], s2, 12, v[17:18]
	v_cmp_lt_u64_e32 vcc, s[12:13], v[1:2]
	v_mov_b32_e32 v2, s19
	s_and_b64 s[0:1], vcc, exec
	v_add_co_u32_e32 v1, vcc, s18, v5
	v_addc_co_u32_e32 v2, vcc, v2, v6, vcc
	v_mov_b32_e32 v4, s17
	v_add_co_u32_e32 v3, vcc, s16, v5
	v_addc_co_u32_e32 v4, vcc, v4, v6, vcc
	v_mov_b32_e32 v7, s15
	v_add_co_u32_e32 v5, vcc, s14, v5
	s_cselect_b32 s13, s13, 0
	s_cselect_b32 s12, s12, 0x10000
	v_addc_co_u32_e32 v6, vcc, v7, v6, vcc
	s_lshl_b32 s0, s2, 3
	v_add_co_u32_e32 v11, vcc, s0, v17
	v_addc_co_u32_e64 v12, s[0:1], 0, 0, vcc
	v_mov_b32_e32 v8, s19
	v_add_co_u32_e32 v7, vcc, s18, v11
	v_addc_co_u32_e32 v8, vcc, v8, v12, vcc
	v_mov_b32_e32 v10, s17
	v_add_co_u32_e32 v9, vcc, s16, v11
	v_addc_co_u32_e32 v10, vcc, v10, v12, vcc
	;; [unrolled: 3-line block ×6, first 2 shown]
	v_add_co_u32_e32 v19, vcc, s2, v0
	v_lshlrev_b32_e32 v25, 2, v19
	v_addc_co_u32_e64 v20, s[0:1], 0, 0, vcc
	v_mov_b32_e32 v22, s19
	v_add_co_u32_e32 v21, vcc, s18, v25
	v_addc_co_u32_e32 v22, vcc, 0, v22, vcc
	v_mov_b32_e32 v24, s17
	v_add_co_u32_e32 v23, vcc, s16, v25
	v_addc_co_u32_e32 v24, vcc, 0, v24, vcc
	v_mov_b32_e32 v26, s15
	v_add_co_u32_e32 v25, vcc, s14, v25
	s_mul_i32 s4, s2, 3
	v_addc_co_u32_e32 v26, vcc, 0, v26, vcc
	s_lshl_b32 s3, s2, 1
	v_add_co_u32_e32 v27, vcc, s4, v0
	v_addc_co_u32_e64 v28, s[0:1], 0, 0, vcc
	v_add_co_u32_e32 v29, vcc, s3, v0
	s_lshl_b32 s20, s2, 2
	s_lshl_b32 s21, s2, 4
	s_mov_b64 s[14:15], 0
	v_addc_co_u32_e64 v30, s[0:1], 0, 0, vcc
	s_branch .LBB7_9
.LBB7_8:                                ;   in Loop: Header=BB7_9 Depth=1
	s_or_b64 exec, exec, s[0:1]
	v_add_co_u32_e32 v13, vcc, s21, v13
	v_addc_co_u32_e32 v14, vcc, 0, v14, vcc
	v_add_co_u32_e32 v15, vcc, s21, v15
	v_addc_co_u32_e32 v16, vcc, 0, v16, vcc
	;; [unrolled: 2-line block ×10, first 2 shown]
	s_add_u32 s14, s14, s20
	v_add_co_u32_e32 v23, vcc, s21, v23
	s_waitcnt vmcnt(0)
	v_mov_b32_e32 v32, s11
	s_addc_u32 s15, s15, 0
	v_addc_co_u32_e32 v24, vcc, 0, v24, vcc
	v_mov_b32_e32 v31, s10
	v_cmp_ge_i64_e32 vcc, s[14:15], v[31:32]
	v_add_co_u32_e64 v25, s[0:1], s21, v25
	v_addc_co_u32_e64 v26, s[0:1], 0, v26, s[0:1]
	s_cbranch_vccnz .LBB7_33
.LBB7_9:                                ; =>This Inner Loop Header: Depth=1
	v_mov_b32_e32 v32, s15
	v_add_co_u32_e32 v31, vcc, s14, v0
	v_addc_co_u32_e32 v32, vcc, 0, v32, vcc
	v_cmp_gt_u64_e32 vcc, s[12:13], v[31:32]
	v_mov_b32_e32 v32, 0
	v_mov_b32_e32 v31, 0
	s_and_saveexec_b64 s[2:3], vcc
	s_cbranch_execz .LBB7_11
; %bb.10:                               ;   in Loop: Header=BB7_9 Depth=1
	v_mov_b32_e32 v31, s9
	v_add_co_u32_e64 v33, s[0:1], s8, v15
	v_addc_co_u32_e64 v34, s[0:1], v16, v31, s[0:1]
	v_add_co_u32_e64 v35, s[0:1], s8, v13
	v_addc_co_u32_e64 v36, s[0:1], v14, v31, s[0:1]
	global_load_dword v31, v[35:36], off
	global_load_dword v32, v[33:34], off
.LBB7_11:                               ;   in Loop: Header=BB7_9 Depth=1
	s_or_b64 exec, exec, s[2:3]
	v_mov_b32_e32 v33, 0
	v_mov_b32_e32 v34, 0
	s_and_saveexec_b64 s[2:3], vcc
	s_cbranch_execz .LBB7_13
; %bb.12:                               ;   in Loop: Header=BB7_9 Depth=1
	v_mov_b32_e32 v35, s9
	v_add_co_u32_e64 v34, s[0:1], s8, v17
	v_addc_co_u32_e64 v35, s[0:1], v18, v35, s[0:1]
	global_load_dword v34, v[34:35], off
.LBB7_13:                               ;   in Loop: Header=BB7_9 Depth=1
	s_or_b64 exec, exec, s[2:3]
	v_mov_b32_e32 v36, s15
	v_add_co_u32_e64 v35, s[0:1], s14, v19
	v_addc_co_u32_e64 v36, s[0:1], v20, v36, s[0:1]
	v_cmp_gt_u64_e64 s[0:1], s[12:13], v[35:36]
	v_mov_b32_e32 v35, 0
	s_and_saveexec_b64 s[4:5], s[0:1]
	s_cbranch_execz .LBB7_15
; %bb.14:                               ;   in Loop: Header=BB7_9 Depth=1
	v_mov_b32_e32 v33, s9
	v_add_co_u32_e64 v36, s[2:3], s8, v23
	v_addc_co_u32_e64 v37, s[2:3], v24, v33, s[2:3]
	v_add_co_u32_e64 v38, s[2:3], s8, v21
	v_addc_co_u32_e64 v39, s[2:3], v22, v33, s[2:3]
	global_load_dword v35, v[38:39], off
	global_load_dword v33, v[36:37], off
.LBB7_15:                               ;   in Loop: Header=BB7_9 Depth=1
	s_or_b64 exec, exec, s[4:5]
	v_mov_b32_e32 v36, 0
	v_mov_b32_e32 v37, 0
	s_and_saveexec_b64 s[4:5], s[0:1]
	s_cbranch_execz .LBB7_17
; %bb.16:                               ;   in Loop: Header=BB7_9 Depth=1
	v_mov_b32_e32 v38, s9
	v_add_co_u32_e64 v37, s[2:3], s8, v25
	v_addc_co_u32_e64 v38, s[2:3], v26, v38, s[2:3]
	global_load_dword v37, v[37:38], off
.LBB7_17:                               ;   in Loop: Header=BB7_9 Depth=1
	s_or_b64 exec, exec, s[4:5]
	v_mov_b32_e32 v39, s15
	v_add_co_u32_e64 v38, s[2:3], s14, v29
	v_addc_co_u32_e64 v39, s[2:3], v30, v39, s[2:3]
	v_cmp_gt_u64_e64 s[2:3], s[12:13], v[38:39]
	v_mov_b32_e32 v38, 0
	s_and_saveexec_b64 s[6:7], s[2:3]
	s_cbranch_execz .LBB7_19
; %bb.18:                               ;   in Loop: Header=BB7_9 Depth=1
	v_mov_b32_e32 v36, s9
	v_add_co_u32_e64 v39, s[4:5], s8, v9
	v_addc_co_u32_e64 v40, s[4:5], v10, v36, s[4:5]
	v_add_co_u32_e64 v41, s[4:5], s8, v7
	v_addc_co_u32_e64 v42, s[4:5], v8, v36, s[4:5]
	global_load_dword v38, v[41:42], off
	global_load_dword v36, v[39:40], off
.LBB7_19:                               ;   in Loop: Header=BB7_9 Depth=1
	s_or_b64 exec, exec, s[6:7]
	v_mov_b32_e32 v39, 0
	v_mov_b32_e32 v40, 0
	s_and_saveexec_b64 s[6:7], s[2:3]
	s_cbranch_execz .LBB7_21
; %bb.20:                               ;   in Loop: Header=BB7_9 Depth=1
	v_mov_b32_e32 v41, s9
	v_add_co_u32_e64 v40, s[4:5], s8, v11
	v_addc_co_u32_e64 v41, s[4:5], v12, v41, s[4:5]
	global_load_dword v40, v[40:41], off
.LBB7_21:                               ;   in Loop: Header=BB7_9 Depth=1
	s_or_b64 exec, exec, s[6:7]
	v_mov_b32_e32 v42, s15
	v_add_co_u32_e64 v41, s[4:5], s14, v27
	v_addc_co_u32_e64 v42, s[4:5], v28, v42, s[4:5]
	v_cmp_gt_u64_e64 s[4:5], s[12:13], v[41:42]
	v_mov_b32_e32 v41, 0
	s_and_saveexec_b64 s[16:17], s[4:5]
	s_cbranch_execnz .LBB7_27
; %bb.22:                               ;   in Loop: Header=BB7_9 Depth=1
	s_or_b64 exec, exec, s[16:17]
	v_mov_b32_e32 v42, 0
	s_and_saveexec_b64 s[16:17], s[4:5]
	s_cbranch_execnz .LBB7_28
.LBB7_23:                               ;   in Loop: Header=BB7_9 Depth=1
	s_or_b64 exec, exec, s[16:17]
	s_and_saveexec_b64 s[6:7], vcc
	s_cbranch_execnz .LBB7_29
.LBB7_24:                               ;   in Loop: Header=BB7_9 Depth=1
	s_or_b64 exec, exec, s[6:7]
	s_and_saveexec_b64 s[6:7], s[0:1]
	s_cbranch_execnz .LBB7_30
.LBB7_25:                               ;   in Loop: Header=BB7_9 Depth=1
	s_or_b64 exec, exec, s[6:7]
	s_and_saveexec_b64 s[0:1], s[2:3]
	s_cbranch_execnz .LBB7_31
.LBB7_26:                               ;   in Loop: Header=BB7_9 Depth=1
	s_or_b64 exec, exec, s[0:1]
	s_and_saveexec_b64 s[0:1], s[4:5]
	s_cbranch_execz .LBB7_8
	s_branch .LBB7_32
.LBB7_27:                               ;   in Loop: Header=BB7_9 Depth=1
	v_mov_b32_e32 v39, s9
	v_add_co_u32_e64 v42, s[6:7], s8, v3
	v_addc_co_u32_e64 v43, s[6:7], v4, v39, s[6:7]
	v_add_co_u32_e64 v44, s[6:7], s8, v1
	v_addc_co_u32_e64 v45, s[6:7], v2, v39, s[6:7]
	global_load_dword v41, v[44:45], off
	global_load_dword v39, v[42:43], off
	s_or_b64 exec, exec, s[16:17]
	v_mov_b32_e32 v42, 0
	s_and_saveexec_b64 s[16:17], s[4:5]
	s_cbranch_execz .LBB7_23
.LBB7_28:                               ;   in Loop: Header=BB7_9 Depth=1
	v_mov_b32_e32 v43, s9
	v_add_co_u32_e64 v42, s[6:7], s8, v5
	v_addc_co_u32_e64 v43, s[6:7], v6, v43, s[6:7]
	global_load_dword v42, v[42:43], off
	s_or_b64 exec, exec, s[16:17]
	s_and_saveexec_b64 s[6:7], vcc
	s_cbranch_execz .LBB7_24
.LBB7_29:                               ;   in Loop: Header=BB7_9 Depth=1
	v_mov_b32_e32 v44, s9
	v_add_co_u32_e32 v43, vcc, s8, v13
	v_addc_co_u32_e32 v44, vcc, v14, v44, vcc
	s_waitcnt vmcnt(0)
	v_sub_f32_e32 v45, v32, v31
	v_sub_f32_e32 v46, 1.0, v34
	v_fmac_f32_e32 v31, v45, v34
	v_fma_f32 v32, -v45, v46, v32
	v_cmp_lt_f32_e64 vcc, |v34|, 0.5
	v_cndmask_b32_e32 v31, v32, v31, vcc
	global_store_dword v[43:44], v31, off
	s_or_b64 exec, exec, s[6:7]
	s_and_saveexec_b64 s[6:7], s[0:1]
	s_cbranch_execz .LBB7_25
.LBB7_30:                               ;   in Loop: Header=BB7_9 Depth=1
	s_waitcnt vmcnt(0)
	v_sub_f32_e32 v31, v33, v35
	v_sub_f32_e32 v32, 1.0, v37
	v_fmac_f32_e32 v35, v31, v37
	v_fma_f32 v31, -v31, v32, v33
	v_cmp_lt_f32_e64 vcc, |v37|, 0.5
	v_cndmask_b32_e32 v33, v31, v35, vcc
	v_mov_b32_e32 v32, s9
	v_add_co_u32_e32 v31, vcc, s8, v21
	v_addc_co_u32_e32 v32, vcc, v22, v32, vcc
	global_store_dword v[31:32], v33, off
	s_or_b64 exec, exec, s[6:7]
	s_and_saveexec_b64 s[0:1], s[2:3]
	s_cbranch_execz .LBB7_26
.LBB7_31:                               ;   in Loop: Header=BB7_9 Depth=1
	s_waitcnt vmcnt(0)
	v_sub_f32_e32 v31, v36, v38
	v_sub_f32_e32 v32, 1.0, v40
	v_fmac_f32_e32 v38, v31, v40
	v_fma_f32 v31, -v31, v32, v36
	v_cmp_lt_f32_e64 vcc, |v40|, 0.5
	v_cndmask_b32_e32 v33, v31, v38, vcc
	v_mov_b32_e32 v32, s9
	v_add_co_u32_e32 v31, vcc, s8, v7
	v_addc_co_u32_e32 v32, vcc, v8, v32, vcc
	global_store_dword v[31:32], v33, off
	s_or_b64 exec, exec, s[0:1]
	s_and_saveexec_b64 s[0:1], s[4:5]
	s_cbranch_execz .LBB7_8
.LBB7_32:                               ;   in Loop: Header=BB7_9 Depth=1
	s_waitcnt vmcnt(0)
	v_sub_f32_e32 v31, v39, v41
	v_sub_f32_e32 v32, 1.0, v42
	v_fmac_f32_e32 v41, v31, v42
	v_fma_f32 v31, -v31, v32, v39
	v_cmp_lt_f32_e64 vcc, |v42|, 0.5
	v_cndmask_b32_e32 v33, v31, v41, vcc
	v_mov_b32_e32 v32, s9
	v_add_co_u32_e32 v31, vcc, s8, v1
	v_addc_co_u32_e32 v32, vcc, v2, v32, vcc
	global_store_dword v[31:32], v33, off
	s_branch .LBB7_8
.LBB7_33:
	s_endpgm
	.section	.rodata,"a",@progbits
	.p2align	6, 0x0
	.amdhsa_kernel _ZN2at6native12_GLOBAL__N_125multi_tensor_apply_kernelINS1_18TensorListMetadataILi3EEENS1_20TernaryOpListFunctorIfLi3ELi3ELi0EEEJNS0_11LerpFunctorIfEEEEEvT_T0_DpT1_
		.amdhsa_group_segment_fixed_size 0
		.amdhsa_private_segment_fixed_size 0
		.amdhsa_kernarg_size 3408
		.amdhsa_user_sgpr_count 6
		.amdhsa_user_sgpr_private_segment_buffer 1
		.amdhsa_user_sgpr_dispatch_ptr 0
		.amdhsa_user_sgpr_queue_ptr 0
		.amdhsa_user_sgpr_kernarg_segment_ptr 1
		.amdhsa_user_sgpr_dispatch_id 0
		.amdhsa_user_sgpr_flat_scratch_init 0
		.amdhsa_user_sgpr_private_segment_size 0
		.amdhsa_uses_dynamic_stack 0
		.amdhsa_system_sgpr_private_segment_wavefront_offset 0
		.amdhsa_system_sgpr_workgroup_id_x 1
		.amdhsa_system_sgpr_workgroup_id_y 0
		.amdhsa_system_sgpr_workgroup_id_z 0
		.amdhsa_system_sgpr_workgroup_info 0
		.amdhsa_system_vgpr_workitem_id 0
		.amdhsa_next_free_vgpr 47
		.amdhsa_next_free_sgpr 32
		.amdhsa_reserve_vcc 1
		.amdhsa_reserve_flat_scratch 0
		.amdhsa_float_round_mode_32 0
		.amdhsa_float_round_mode_16_64 0
		.amdhsa_float_denorm_mode_32 3
		.amdhsa_float_denorm_mode_16_64 3
		.amdhsa_dx10_clamp 1
		.amdhsa_ieee_mode 1
		.amdhsa_fp16_overflow 0
		.amdhsa_exception_fp_ieee_invalid_op 0
		.amdhsa_exception_fp_denorm_src 0
		.amdhsa_exception_fp_ieee_div_zero 0
		.amdhsa_exception_fp_ieee_overflow 0
		.amdhsa_exception_fp_ieee_underflow 0
		.amdhsa_exception_fp_ieee_inexact 0
		.amdhsa_exception_int_div_zero 0
	.end_amdhsa_kernel
	.section	.text._ZN2at6native12_GLOBAL__N_125multi_tensor_apply_kernelINS1_18TensorListMetadataILi3EEENS1_20TernaryOpListFunctorIfLi3ELi3ELi0EEEJNS0_11LerpFunctorIfEEEEEvT_T0_DpT1_,"axG",@progbits,_ZN2at6native12_GLOBAL__N_125multi_tensor_apply_kernelINS1_18TensorListMetadataILi3EEENS1_20TernaryOpListFunctorIfLi3ELi3ELi0EEEJNS0_11LerpFunctorIfEEEEEvT_T0_DpT1_,comdat
.Lfunc_end7:
	.size	_ZN2at6native12_GLOBAL__N_125multi_tensor_apply_kernelINS1_18TensorListMetadataILi3EEENS1_20TernaryOpListFunctorIfLi3ELi3ELi0EEEJNS0_11LerpFunctorIfEEEEEvT_T0_DpT1_, .Lfunc_end7-_ZN2at6native12_GLOBAL__N_125multi_tensor_apply_kernelINS1_18TensorListMetadataILi3EEENS1_20TernaryOpListFunctorIfLi3ELi3ELi0EEEJNS0_11LerpFunctorIfEEEEEvT_T0_DpT1_
                                        ; -- End function
	.set _ZN2at6native12_GLOBAL__N_125multi_tensor_apply_kernelINS1_18TensorListMetadataILi3EEENS1_20TernaryOpListFunctorIfLi3ELi3ELi0EEEJNS0_11LerpFunctorIfEEEEEvT_T0_DpT1_.num_vgpr, 47
	.set _ZN2at6native12_GLOBAL__N_125multi_tensor_apply_kernelINS1_18TensorListMetadataILi3EEENS1_20TernaryOpListFunctorIfLi3ELi3ELi0EEEJNS0_11LerpFunctorIfEEEEEvT_T0_DpT1_.num_agpr, 0
	.set _ZN2at6native12_GLOBAL__N_125multi_tensor_apply_kernelINS1_18TensorListMetadataILi3EEENS1_20TernaryOpListFunctorIfLi3ELi3ELi0EEEJNS0_11LerpFunctorIfEEEEEvT_T0_DpT1_.numbered_sgpr, 32
	.set _ZN2at6native12_GLOBAL__N_125multi_tensor_apply_kernelINS1_18TensorListMetadataILi3EEENS1_20TernaryOpListFunctorIfLi3ELi3ELi0EEEJNS0_11LerpFunctorIfEEEEEvT_T0_DpT1_.num_named_barrier, 0
	.set _ZN2at6native12_GLOBAL__N_125multi_tensor_apply_kernelINS1_18TensorListMetadataILi3EEENS1_20TernaryOpListFunctorIfLi3ELi3ELi0EEEJNS0_11LerpFunctorIfEEEEEvT_T0_DpT1_.private_seg_size, 0
	.set _ZN2at6native12_GLOBAL__N_125multi_tensor_apply_kernelINS1_18TensorListMetadataILi3EEENS1_20TernaryOpListFunctorIfLi3ELi3ELi0EEEJNS0_11LerpFunctorIfEEEEEvT_T0_DpT1_.uses_vcc, 1
	.set _ZN2at6native12_GLOBAL__N_125multi_tensor_apply_kernelINS1_18TensorListMetadataILi3EEENS1_20TernaryOpListFunctorIfLi3ELi3ELi0EEEJNS0_11LerpFunctorIfEEEEEvT_T0_DpT1_.uses_flat_scratch, 0
	.set _ZN2at6native12_GLOBAL__N_125multi_tensor_apply_kernelINS1_18TensorListMetadataILi3EEENS1_20TernaryOpListFunctorIfLi3ELi3ELi0EEEJNS0_11LerpFunctorIfEEEEEvT_T0_DpT1_.has_dyn_sized_stack, 0
	.set _ZN2at6native12_GLOBAL__N_125multi_tensor_apply_kernelINS1_18TensorListMetadataILi3EEENS1_20TernaryOpListFunctorIfLi3ELi3ELi0EEEJNS0_11LerpFunctorIfEEEEEvT_T0_DpT1_.has_recursion, 0
	.set _ZN2at6native12_GLOBAL__N_125multi_tensor_apply_kernelINS1_18TensorListMetadataILi3EEENS1_20TernaryOpListFunctorIfLi3ELi3ELi0EEEJNS0_11LerpFunctorIfEEEEEvT_T0_DpT1_.has_indirect_call, 0
	.section	.AMDGPU.csdata,"",@progbits
; Kernel info:
; codeLenInByte = 1984
; TotalNumSgprs: 36
; NumVgprs: 47
; ScratchSize: 0
; MemoryBound: 0
; FloatMode: 240
; IeeeMode: 1
; LDSByteSize: 0 bytes/workgroup (compile time only)
; SGPRBlocks: 4
; VGPRBlocks: 11
; NumSGPRsForWavesPerEU: 36
; NumVGPRsForWavesPerEU: 47
; Occupancy: 5
; WaveLimiterHint : 0
; COMPUTE_PGM_RSRC2:SCRATCH_EN: 0
; COMPUTE_PGM_RSRC2:USER_SGPR: 6
; COMPUTE_PGM_RSRC2:TRAP_HANDLER: 0
; COMPUTE_PGM_RSRC2:TGID_X_EN: 1
; COMPUTE_PGM_RSRC2:TGID_Y_EN: 0
; COMPUTE_PGM_RSRC2:TGID_Z_EN: 0
; COMPUTE_PGM_RSRC2:TIDIG_COMP_CNT: 0
	.section	.text._ZN2at6native12_GLOBAL__N_125multi_tensor_apply_kernelINS1_18TensorListMetadataILi3EEENS1_20TernaryOpListFunctorIN3c107complexIdEELi3ELi3ELi0EEEJNS0_11LerpFunctorIS8_EEEEEvT_T0_DpT1_,"axG",@progbits,_ZN2at6native12_GLOBAL__N_125multi_tensor_apply_kernelINS1_18TensorListMetadataILi3EEENS1_20TernaryOpListFunctorIN3c107complexIdEELi3ELi3ELi0EEEJNS0_11LerpFunctorIS8_EEEEEvT_T0_DpT1_,comdat
	.globl	_ZN2at6native12_GLOBAL__N_125multi_tensor_apply_kernelINS1_18TensorListMetadataILi3EEENS1_20TernaryOpListFunctorIN3c107complexIdEELi3ELi3ELi0EEEJNS0_11LerpFunctorIS8_EEEEEvT_T0_DpT1_ ; -- Begin function _ZN2at6native12_GLOBAL__N_125multi_tensor_apply_kernelINS1_18TensorListMetadataILi3EEENS1_20TernaryOpListFunctorIN3c107complexIdEELi3ELi3ELi0EEEJNS0_11LerpFunctorIS8_EEEEEvT_T0_DpT1_
	.p2align	8
	.type	_ZN2at6native12_GLOBAL__N_125multi_tensor_apply_kernelINS1_18TensorListMetadataILi3EEENS1_20TernaryOpListFunctorIN3c107complexIdEELi3ELi3ELi0EEEJNS0_11LerpFunctorIS8_EEEEEvT_T0_DpT1_,@function
_ZN2at6native12_GLOBAL__N_125multi_tensor_apply_kernelINS1_18TensorListMetadataILi3EEENS1_20TernaryOpListFunctorIN3c107complexIdEELi3ELi3ELi0EEEJNS0_11LerpFunctorIS8_EEEEEvT_T0_DpT1_: ; @_ZN2at6native12_GLOBAL__N_125multi_tensor_apply_kernelINS1_18TensorListMetadataILi3EEENS1_20TernaryOpListFunctorIN3c107complexIdEELi3ELi3ELi0EEEJNS0_11LerpFunctorIS8_EEEEEvT_T0_DpT1_
; %bb.0:
	v_mov_b32_e32 v1, s6
	global_load_ubyte v1, v1, s[4:5] offset:1536
	s_add_u32 s0, s4, s6
	s_mul_hi_u32 s1, s6, 3
	s_mul_i32 s6, s6, 3
	s_addc_u32 s2, s5, 0
	s_add_u32 s0, s0, s6
	s_addc_u32 s1, s2, s1
	s_load_dword s0, s[0:1], 0x740
	s_mov_b32 s3, 0
	s_mov_b32 s7, s3
	s_waitcnt lgkmcnt(0)
	s_ashr_i32 s1, s0, 31
	s_lshl_b64 s[12:13], s[0:1], 20
	s_waitcnt vmcnt(0)
	v_readfirstlane_b32 s2, v1
	s_lshl_b32 s2, s2, 3
	s_load_dwordx2 s[8:9], s[4:5], s2 offset:0x0
	s_load_dwordx2 s[10:11], s[4:5], s2 offset:0x180
	;; [unrolled: 1-line block ×4, first 2 shown]
	s_waitcnt lgkmcnt(0)
	s_add_u32 s8, s8, s12
	s_addc_u32 s9, s9, s13
	s_add_u32 s10, s10, s12
	s_addc_u32 s11, s11, s13
	;; [unrolled: 2-line block ×3, first 2 shown]
	s_or_b32 s6, s12, s10
	s_lshl_b64 s[0:1], s[0:1], 16
	s_and_b32 s2, s8, 63
	s_and_b32 s6, s6, 63
	s_cmp_lg_u32 s6, 0
	s_cselect_b64 s[16:17], -1, 0
	s_sub_u32 s0, s14, s0
	s_subb_u32 s1, s15, s1
	s_and_b32 s6, s14, 3
	s_or_b64 s[2:3], s[2:3], s[6:7]
	s_cmp_lg_u64 s[2:3], 0
	s_cselect_b64 s[2:3], -1, 0
	s_or_b64 s[2:3], s[16:17], s[2:3]
	s_andn2_b64 vcc, exec, s[2:3]
	s_mov_b64 s[2:3], -1
	s_cbranch_vccz .LBB8_21
; %bb.1:
	v_mov_b32_e32 v1, 0x10000
	v_mov_b32_e32 v2, 0
	v_cmp_lt_i64_e32 vcc, s[0:1], v[1:2]
	v_mov_b32_e32 v2, 0
	s_and_b64 s[2:3], vcc, exec
	s_cselect_b32 s3, s1, 0
	s_cselect_b32 s2, s0, 0x10000
	v_lshlrev_b32_e32 v1, 2, v0
	v_cmp_gt_i64_e32 vcc, s[2:3], v[1:2]
	s_and_saveexec_b64 s[6:7], vcc
	s_cbranch_execz .LBB8_20
; %bb.2:
	s_load_dword s16, s[4:5], 0xc5c
	v_mov_b32_e32 v1, v2
	v_mov_b32_e32 v54, v1
	v_lshlrev_b32_e32 v61, 6, v0
	s_mov_b64 s[14:15], 0
	s_waitcnt lgkmcnt(0)
	s_and_b32 s26, s16, 0xffff
	s_mov_b32 s16, 0
	s_lshl_b32 s27, s26, 6
	s_mov_b32 s17, 0x3fd00000
	s_mov_b64 s[18:19], s[10:11]
	s_mov_b64 s[20:21], s[8:9]
	;; [unrolled: 1-line block ×3, first 2 shown]
	v_mov_b32_e32 v53, v0
	s_branch .LBB8_4
.LBB8_3:                                ;   in Loop: Header=BB8_4 Depth=1
	s_or_b64 exec, exec, s[24:25]
	v_add_co_u32_e32 v53, vcc, s26, v53
	s_add_u32 s22, s22, s27
	v_addc_co_u32_e32 v54, vcc, 0, v54, vcc
	s_addc_u32 s23, s23, 0
	v_lshlrev_b64 v[1:2], 2, v[53:54]
	s_add_u32 s20, s20, s27
	s_addc_u32 s21, s21, 0
	s_add_u32 s18, s18, s27
	v_cmp_le_i64_e32 vcc, s[2:3], v[1:2]
	s_addc_u32 s19, s19, 0
	s_or_b64 s[14:15], vcc, s[14:15]
	global_store_dwordx4 v[55:56], v[9:12], off
	global_store_dwordx4 v[55:56], v[25:28], off offset:16
	global_store_dwordx4 v[55:56], v[33:36], off offset:32
	;; [unrolled: 1-line block ×3, first 2 shown]
	s_andn2_b64 exec, exec, s[14:15]
	s_cbranch_execz .LBB8_20
.LBB8_4:                                ; =>This Inner Loop Header: Depth=1
	v_mov_b32_e32 v1, s23
	v_add_co_u32_e32 v9, vcc, s22, v61
	v_addc_co_u32_e32 v10, vcc, 0, v1, vcc
	global_load_dwordx4 v[25:28], v[9:10], off
	v_mov_b32_e32 v1, s21
	v_add_co_u32_e32 v55, vcc, s20, v61
	v_addc_co_u32_e32 v56, vcc, 0, v1, vcc
	v_mov_b32_e32 v2, s19
	v_add_co_u32_e32 v11, vcc, s18, v61
	v_addc_co_u32_e32 v12, vcc, 0, v2, vcc
	global_load_dwordx4 v[45:48], v[55:56], off
	global_load_dwordx4 v[49:52], v[11:12], off
	global_load_dwordx4 v[33:36], v[9:10], off offset:16
	global_load_dwordx4 v[37:40], v[55:56], off offset:16
	;; [unrolled: 1-line block ×9, first 2 shown]
	s_waitcnt vmcnt(11)
	v_mul_f64 v[9:10], v[27:28], v[27:28]
	s_waitcnt vmcnt(9)
	v_add_f64 v[59:60], v[49:50], -v[45:46]
	v_add_f64 v[57:58], v[51:52], -v[47:48]
	v_fma_f64 v[9:10], v[25:26], v[25:26], v[9:10]
	v_cmp_ngt_f64_e32 vcc, s[16:17], v[9:10]
                                        ; implicit-def: $vgpr11_vgpr12
	s_and_saveexec_b64 s[24:25], vcc
	s_xor_b64 s[24:25], exec, s[24:25]
	s_cbranch_execz .LBB8_6
; %bb.5:                                ;   in Loop: Header=BB8_4 Depth=1
	v_add_f64 v[9:10], -v[27:28], 0
	v_add_f64 v[11:12], -v[25:26], 1.0
                                        ; implicit-def: $vgpr45_vgpr46
	v_mul_f64 v[25:26], v[57:58], v[9:10]
	v_mul_f64 v[9:10], v[59:60], v[9:10]
	v_fma_f64 v[25:26], v[59:60], v[11:12], -v[25:26]
	v_fma_f64 v[11:12], v[57:58], v[11:12], v[9:10]
                                        ; implicit-def: $vgpr57_vgpr58
                                        ; implicit-def: $vgpr59_vgpr60
	v_add_f64 v[9:10], v[49:50], -v[25:26]
	v_add_f64 v[11:12], v[51:52], -v[11:12]
                                        ; implicit-def: $vgpr27_vgpr28
.LBB8_6:                                ;   in Loop: Header=BB8_4 Depth=1
	s_andn2_saveexec_b64 s[24:25], s[24:25]
	s_cbranch_execz .LBB8_8
; %bb.7:                                ;   in Loop: Header=BB8_4 Depth=1
	v_mul_f64 v[9:10], v[57:58], v[27:28]
	v_mul_f64 v[11:12], v[59:60], v[27:28]
	v_fma_f64 v[9:10], v[59:60], v[25:26], -v[9:10]
	v_fma_f64 v[11:12], v[57:58], v[25:26], v[11:12]
	v_add_f64 v[9:10], v[45:46], v[9:10]
	v_add_f64 v[11:12], v[47:48], v[11:12]
.LBB8_8:                                ;   in Loop: Header=BB8_4 Depth=1
	s_or_b64 exec, exec, s[24:25]
	s_waitcnt vmcnt(8)
	v_mul_f64 v[25:26], v[35:36], v[35:36]
	s_waitcnt vmcnt(6)
	v_add_f64 v[47:48], v[41:42], -v[37:38]
	v_add_f64 v[45:46], v[43:44], -v[39:40]
	v_fma_f64 v[25:26], v[33:34], v[33:34], v[25:26]
	v_cmp_ngt_f64_e32 vcc, s[16:17], v[25:26]
                                        ; implicit-def: $vgpr27_vgpr28
	s_and_saveexec_b64 s[24:25], vcc
	s_xor_b64 s[24:25], exec, s[24:25]
	s_cbranch_execz .LBB8_10
; %bb.9:                                ;   in Loop: Header=BB8_4 Depth=1
	v_add_f64 v[25:26], -v[35:36], 0
	v_add_f64 v[27:28], -v[33:34], 1.0
                                        ; implicit-def: $vgpr37_vgpr38
	v_mul_f64 v[33:34], v[45:46], v[25:26]
	v_mul_f64 v[25:26], v[47:48], v[25:26]
	v_fma_f64 v[33:34], v[47:48], v[27:28], -v[33:34]
	v_fma_f64 v[27:28], v[45:46], v[27:28], v[25:26]
                                        ; implicit-def: $vgpr45_vgpr46
                                        ; implicit-def: $vgpr47_vgpr48
	v_add_f64 v[25:26], v[41:42], -v[33:34]
	v_add_f64 v[27:28], v[43:44], -v[27:28]
                                        ; implicit-def: $vgpr35_vgpr36
.LBB8_10:                               ;   in Loop: Header=BB8_4 Depth=1
	s_andn2_saveexec_b64 s[24:25], s[24:25]
	s_cbranch_execz .LBB8_12
; %bb.11:                               ;   in Loop: Header=BB8_4 Depth=1
	v_mul_f64 v[25:26], v[45:46], v[35:36]
	v_mul_f64 v[27:28], v[47:48], v[35:36]
	v_fma_f64 v[25:26], v[47:48], v[33:34], -v[25:26]
	v_fma_f64 v[27:28], v[45:46], v[33:34], v[27:28]
	v_add_f64 v[25:26], v[37:38], v[25:26]
	v_add_f64 v[27:28], v[39:40], v[27:28]
.LBB8_12:                               ;   in Loop: Header=BB8_4 Depth=1
	s_or_b64 exec, exec, s[24:25]
	s_waitcnt vmcnt(0)
	v_mul_f64 v[33:34], v[19:20], v[19:20]
	v_add_f64 v[39:40], v[29:30], -v[21:22]
	v_add_f64 v[37:38], v[31:32], -v[23:24]
	v_fma_f64 v[33:34], v[17:18], v[17:18], v[33:34]
	v_cmp_ngt_f64_e32 vcc, s[16:17], v[33:34]
                                        ; implicit-def: $vgpr35_vgpr36
	s_and_saveexec_b64 s[24:25], vcc
	s_xor_b64 s[24:25], exec, s[24:25]
	s_cbranch_execz .LBB8_14
; %bb.13:                               ;   in Loop: Header=BB8_4 Depth=1
	v_add_f64 v[19:20], -v[19:20], 0
	v_add_f64 v[17:18], -v[17:18], 1.0
	v_mul_f64 v[21:22], v[37:38], v[19:20]
	v_mul_f64 v[19:20], v[39:40], v[19:20]
	v_fma_f64 v[21:22], v[39:40], v[17:18], -v[21:22]
	v_fma_f64 v[17:18], v[37:38], v[17:18], v[19:20]
                                        ; implicit-def: $vgpr37_vgpr38
                                        ; implicit-def: $vgpr39_vgpr40
	v_add_f64 v[33:34], v[29:30], -v[21:22]
	v_add_f64 v[35:36], v[31:32], -v[17:18]
                                        ; implicit-def: $vgpr19_vgpr20
                                        ; implicit-def: $vgpr21_vgpr22
.LBB8_14:                               ;   in Loop: Header=BB8_4 Depth=1
	s_andn2_saveexec_b64 s[24:25], s[24:25]
	s_cbranch_execz .LBB8_16
; %bb.15:                               ;   in Loop: Header=BB8_4 Depth=1
	v_mul_f64 v[29:30], v[37:38], v[19:20]
	v_mul_f64 v[19:20], v[39:40], v[19:20]
	v_fma_f64 v[29:30], v[39:40], v[17:18], -v[29:30]
	v_fma_f64 v[17:18], v[37:38], v[17:18], v[19:20]
	v_add_f64 v[33:34], v[21:22], v[29:30]
	v_add_f64 v[35:36], v[23:24], v[17:18]
.LBB8_16:                               ;   in Loop: Header=BB8_4 Depth=1
	s_or_b64 exec, exec, s[24:25]
	v_mul_f64 v[17:18], v[3:4], v[3:4]
	v_add_f64 v[23:24], v[13:14], -v[5:6]
	v_add_f64 v[21:22], v[15:16], -v[7:8]
	v_fma_f64 v[17:18], v[1:2], v[1:2], v[17:18]
	v_cmp_ngt_f64_e32 vcc, s[16:17], v[17:18]
                                        ; implicit-def: $vgpr19_vgpr20
	s_and_saveexec_b64 s[24:25], vcc
	s_xor_b64 s[24:25], exec, s[24:25]
	s_cbranch_execz .LBB8_18
; %bb.17:                               ;   in Loop: Header=BB8_4 Depth=1
	v_add_f64 v[3:4], -v[3:4], 0
	v_add_f64 v[1:2], -v[1:2], 1.0
	v_mul_f64 v[5:6], v[21:22], v[3:4]
	v_mul_f64 v[3:4], v[23:24], v[3:4]
	v_fma_f64 v[5:6], v[23:24], v[1:2], -v[5:6]
	v_fma_f64 v[1:2], v[21:22], v[1:2], v[3:4]
                                        ; implicit-def: $vgpr21_vgpr22
                                        ; implicit-def: $vgpr23_vgpr24
	v_add_f64 v[17:18], v[13:14], -v[5:6]
	v_add_f64 v[19:20], v[15:16], -v[1:2]
                                        ; implicit-def: $vgpr3_vgpr4
                                        ; implicit-def: $vgpr5_vgpr6
.LBB8_18:                               ;   in Loop: Header=BB8_4 Depth=1
	s_andn2_saveexec_b64 s[24:25], s[24:25]
	s_cbranch_execz .LBB8_3
; %bb.19:                               ;   in Loop: Header=BB8_4 Depth=1
	v_mul_f64 v[13:14], v[21:22], v[3:4]
	v_mul_f64 v[3:4], v[23:24], v[3:4]
	v_fma_f64 v[13:14], v[23:24], v[1:2], -v[13:14]
	v_fma_f64 v[1:2], v[21:22], v[1:2], v[3:4]
	v_add_f64 v[17:18], v[5:6], v[13:14]
	v_add_f64 v[19:20], v[7:8], v[1:2]
	s_branch .LBB8_3
.LBB8_20:
	s_or_b64 exec, exec, s[6:7]
	s_mov_b64 s[2:3], 0
.LBB8_21:
	s_andn2_b64 vcc, exec, s[2:3]
	s_cbranch_vccnz .LBB8_65
; %bb.22:
	v_cmp_lt_i64_e64 s[2:3], s[0:1], 1
	s_and_b64 vcc, exec, s[2:3]
	s_cbranch_vccnz .LBB8_65
; %bb.23:
	v_mov_b32_e32 v1, 0x10000
	s_load_dword s4, s[4:5], 0xc5c
	v_mov_b32_e32 v2, 0
	v_cmp_lt_i64_e32 vcc, s[0:1], v[1:2]
	s_mov_b32 s18, 0
	s_and_b64 s[2:3], vcc, exec
	v_cmp_lt_u64_e32 vcc, s[0:1], v[1:2]
	s_cselect_b32 s15, s1, 0
	s_cselect_b32 s14, s0, 0x10000
	s_waitcnt lgkmcnt(0)
	s_and_b32 s24, s4, 0xffff
	s_and_b64 s[2:3], vcc, exec
	s_cselect_b32 s17, s1, 0
	s_cselect_b32 s16, s0, 0x10000
	s_lshl_b32 s25, s24, 1
	s_mul_i32 s26, s24, 3
	s_lshl_b32 s27, s24, 2
	s_mov_b32 s19, 0x3fd00000
	s_mov_b64 s[20:21], 0
	s_branch .LBB8_25
.LBB8_24:                               ;   in Loop: Header=BB8_25 Depth=1
	s_or_b64 exec, exec, s[0:1]
	s_add_u32 s20, s20, s27
	v_mov_b32_e32 v1, s14
	s_addc_u32 s21, s21, 0
	v_mov_b32_e32 v2, s15
	v_cmp_ge_i64_e32 vcc, s[20:21], v[1:2]
	s_cbranch_vccnz .LBB8_65
.LBB8_25:                               ; =>This Inner Loop Header: Depth=1
	v_mov_b32_e32 v1, s21
	v_add_co_u32_e32 v53, vcc, s20, v0
	v_addc_co_u32_e32 v54, vcc, 0, v1, vcc
	v_cmp_gt_u64_e32 vcc, s[16:17], v[53:54]
	v_mov_b32_e32 v3, 0
	v_mov_b32_e32 v23, 0
	;; [unrolled: 1-line block ×10, first 2 shown]
	s_and_saveexec_b64 s[2:3], vcc
	s_cbranch_execz .LBB8_27
; %bb.26:                               ;   in Loop: Header=BB8_25 Depth=1
	v_lshlrev_b64 v[1:2], 4, v[53:54]
	v_mov_b32_e32 v6, s11
	v_add_co_u32_e64 v5, s[0:1], s10, v1
	v_addc_co_u32_e64 v6, s[0:1], v6, v2, s[0:1]
	v_mov_b32_e32 v7, s9
	v_add_co_u32_e64 v1, s[0:1], s8, v1
	v_addc_co_u32_e64 v2, s[0:1], v7, v2, s[0:1]
	global_load_dwordx4 v[9:12], v[1:2], off
	global_load_dwordx4 v[21:24], v[5:6], off
.LBB8_27:                               ;   in Loop: Header=BB8_25 Depth=1
	s_or_b64 exec, exec, s[2:3]
	v_mov_b32_e32 v1, 0
	v_mov_b32_e32 v2, 0
	s_and_saveexec_b64 s[2:3], vcc
	s_cbranch_execz .LBB8_29
; %bb.28:                               ;   in Loop: Header=BB8_25 Depth=1
	v_lshlrev_b64 v[1:2], 4, v[53:54]
	v_mov_b32_e32 v3, s13
	v_add_co_u32_e64 v1, s[0:1], s12, v1
	v_addc_co_u32_e64 v2, s[0:1], v3, v2, s[0:1]
	global_load_dwordx4 v[1:4], v[1:2], off
.LBB8_29:                               ;   in Loop: Header=BB8_25 Depth=1
	s_or_b64 exec, exec, s[2:3]
	v_add_co_u32_e64 v55, s[0:1], s24, v53
	v_addc_co_u32_e64 v56, s[0:1], 0, v54, s[0:1]
	v_cmp_gt_u64_e64 s[0:1], s[16:17], v[55:56]
	v_mov_b32_e32 v7, 0
	v_mov_b32_e32 v35, 0
	v_mov_b32_e32 v33, 0
	v_mov_b32_e32 v15, 0
	v_mov_b32_e32 v13, 0
	v_mov_b32_e32 v8, 0
	v_mov_b32_e32 v36, 0
	v_mov_b32_e32 v34, 0
	v_mov_b32_e32 v16, 0
	v_mov_b32_e32 v14, 0
	s_and_saveexec_b64 s[4:5], s[0:1]
	s_cbranch_execz .LBB8_31
; %bb.30:                               ;   in Loop: Header=BB8_25 Depth=1
	v_lshlrev_b64 v[5:6], 4, v[55:56]
	v_mov_b32_e32 v13, s11
	v_add_co_u32_e64 v17, s[2:3], s10, v5
	v_addc_co_u32_e64 v18, s[2:3], v13, v6, s[2:3]
	v_mov_b32_e32 v13, s9
	v_add_co_u32_e64 v5, s[2:3], s8, v5
	v_addc_co_u32_e64 v6, s[2:3], v13, v6, s[2:3]
	global_load_dwordx4 v[13:16], v[5:6], off
	global_load_dwordx4 v[33:36], v[17:18], off
.LBB8_31:                               ;   in Loop: Header=BB8_25 Depth=1
	s_or_b64 exec, exec, s[4:5]
	v_mov_b32_e32 v5, 0
	v_mov_b32_e32 v6, 0
	s_and_saveexec_b64 s[4:5], s[0:1]
	s_cbranch_execz .LBB8_33
; %bb.32:                               ;   in Loop: Header=BB8_25 Depth=1
	v_lshlrev_b64 v[5:6], 4, v[55:56]
	v_mov_b32_e32 v7, s13
	v_add_co_u32_e64 v5, s[2:3], s12, v5
	v_addc_co_u32_e64 v6, s[2:3], v7, v6, s[2:3]
	global_load_dwordx4 v[5:8], v[5:6], off
.LBB8_33:                               ;   in Loop: Header=BB8_25 Depth=1
	s_or_b64 exec, exec, s[4:5]
	v_add_co_u32_e64 v57, s[2:3], s25, v53
	v_addc_co_u32_e64 v58, s[2:3], 0, v54, s[2:3]
	v_cmp_gt_u64_e64 s[2:3], s[16:17], v[57:58]
	v_mov_b32_e32 v19, 0
	v_mov_b32_e32 v43, 0
	v_mov_b32_e32 v41, 0
	v_mov_b32_e32 v27, 0
	v_mov_b32_e32 v25, 0
	v_mov_b32_e32 v20, 0
	v_mov_b32_e32 v44, 0
	v_mov_b32_e32 v42, 0
	v_mov_b32_e32 v28, 0
	v_mov_b32_e32 v26, 0
	s_and_saveexec_b64 s[6:7], s[2:3]
	s_cbranch_execz .LBB8_35
; %bb.34:                               ;   in Loop: Header=BB8_25 Depth=1
	v_lshlrev_b64 v[17:18], 4, v[57:58]
	v_mov_b32_e32 v25, s11
	v_add_co_u32_e64 v29, s[4:5], s10, v17
	v_addc_co_u32_e64 v30, s[4:5], v25, v18, s[4:5]
	v_mov_b32_e32 v25, s9
	v_add_co_u32_e64 v17, s[4:5], s8, v17
	v_addc_co_u32_e64 v18, s[4:5], v25, v18, s[4:5]
	global_load_dwordx4 v[25:28], v[17:18], off
	global_load_dwordx4 v[41:44], v[29:30], off
.LBB8_35:                               ;   in Loop: Header=BB8_25 Depth=1
	s_or_b64 exec, exec, s[6:7]
	v_mov_b32_e32 v17, 0
	v_mov_b32_e32 v18, 0
	s_and_saveexec_b64 s[6:7], s[2:3]
	;; [unrolled: 39-line block ×3, first 2 shown]
	s_cbranch_execz .LBB8_41
; %bb.40:                               ;   in Loop: Header=BB8_25 Depth=1
	v_lshlrev_b64 v[29:30], 4, v[59:60]
	v_mov_b32_e32 v31, s13
	v_add_co_u32_e64 v29, s[6:7], s12, v29
	v_addc_co_u32_e64 v30, s[6:7], v31, v30, s[6:7]
	global_load_dwordx4 v[29:32], v[29:30], off
.LBB8_41:                               ;   in Loop: Header=BB8_25 Depth=1
	s_or_b64 exec, exec, s[22:23]
	s_waitcnt vmcnt(0)
	v_mul_f64 v[49:50], v[1:2], v[1:2]
	v_add_f64 v[61:62], v[21:22], -v[9:10]
	v_add_f64 v[63:64], v[23:24], -v[11:12]
	v_fma_f64 v[49:50], v[3:4], v[3:4], v[49:50]
	v_cmp_ngt_f64_e64 s[6:7], s[18:19], v[49:50]
                                        ; implicit-def: $vgpr51_vgpr52
	s_and_saveexec_b64 s[22:23], s[6:7]
	s_xor_b64 s[6:7], exec, s[22:23]
	s_cbranch_execz .LBB8_43
; %bb.42:                               ;   in Loop: Header=BB8_25 Depth=1
	v_add_f64 v[3:4], -v[3:4], 0
	v_add_f64 v[1:2], -v[1:2], 1.0
	v_mul_f64 v[9:10], v[63:64], v[3:4]
	v_mul_f64 v[11:12], v[63:64], v[1:2]
                                        ; implicit-def: $vgpr63_vgpr64
	v_fma_f64 v[1:2], v[61:62], v[1:2], -v[9:10]
	v_fma_f64 v[3:4], v[61:62], v[3:4], v[11:12]
                                        ; implicit-def: $vgpr61_vgpr62
                                        ; implicit-def: $vgpr9_vgpr10
	v_add_f64 v[49:50], v[21:22], -v[1:2]
	v_add_f64 v[51:52], v[23:24], -v[3:4]
                                        ; implicit-def: $vgpr3_vgpr4
.LBB8_43:                               ;   in Loop: Header=BB8_25 Depth=1
	s_andn2_saveexec_b64 s[6:7], s[6:7]
	s_cbranch_execz .LBB8_45
; %bb.44:                               ;   in Loop: Header=BB8_25 Depth=1
	v_mul_f64 v[21:22], v[63:64], v[3:4]
	v_mul_f64 v[23:24], v[63:64], v[1:2]
	v_fma_f64 v[1:2], v[61:62], v[1:2], -v[21:22]
	v_fma_f64 v[3:4], v[61:62], v[3:4], v[23:24]
	v_add_f64 v[49:50], v[9:10], v[1:2]
	v_add_f64 v[51:52], v[11:12], v[3:4]
.LBB8_45:                               ;   in Loop: Header=BB8_25 Depth=1
	s_or_b64 exec, exec, s[6:7]
	v_mul_f64 v[1:2], v[5:6], v[5:6]
	v_add_f64 v[9:10], v[33:34], -v[13:14]
	v_add_f64 v[11:12], v[35:36], -v[15:16]
	v_fma_f64 v[1:2], v[7:8], v[7:8], v[1:2]
	v_cmp_ngt_f64_e64 s[6:7], s[18:19], v[1:2]
                                        ; implicit-def: $vgpr3_vgpr4
	s_and_saveexec_b64 s[22:23], s[6:7]
	s_xor_b64 s[6:7], exec, s[22:23]
	s_cbranch_execz .LBB8_47
; %bb.46:                               ;   in Loop: Header=BB8_25 Depth=1
	v_add_f64 v[1:2], -v[7:8], 0
	v_add_f64 v[3:4], -v[5:6], 1.0
                                        ; implicit-def: $vgpr13_vgpr14
	v_mul_f64 v[5:6], v[11:12], v[1:2]
	v_mul_f64 v[7:8], v[11:12], v[3:4]
                                        ; implicit-def: $vgpr11_vgpr12
	v_fma_f64 v[3:4], v[9:10], v[3:4], -v[5:6]
	v_fma_f64 v[5:6], v[9:10], v[1:2], v[7:8]
                                        ; implicit-def: $vgpr9_vgpr10
	v_add_f64 v[1:2], v[33:34], -v[3:4]
	v_add_f64 v[3:4], v[35:36], -v[5:6]
                                        ; implicit-def: $vgpr7_vgpr8
.LBB8_47:                               ;   in Loop: Header=BB8_25 Depth=1
	s_andn2_saveexec_b64 s[6:7], s[6:7]
	s_cbranch_execz .LBB8_49
; %bb.48:                               ;   in Loop: Header=BB8_25 Depth=1
	v_mul_f64 v[1:2], v[11:12], v[7:8]
	v_mul_f64 v[3:4], v[11:12], v[5:6]
	v_fma_f64 v[1:2], v[9:10], v[5:6], -v[1:2]
	v_fma_f64 v[3:4], v[9:10], v[7:8], v[3:4]
	v_add_f64 v[1:2], v[13:14], v[1:2]
	v_add_f64 v[3:4], v[15:16], v[3:4]
.LBB8_49:                               ;   in Loop: Header=BB8_25 Depth=1
	s_or_b64 exec, exec, s[6:7]
	v_mul_f64 v[5:6], v[17:18], v[17:18]
	v_add_f64 v[9:10], v[41:42], -v[25:26]
	v_add_f64 v[11:12], v[43:44], -v[27:28]
	v_fma_f64 v[5:6], v[19:20], v[19:20], v[5:6]
	v_cmp_ngt_f64_e64 s[6:7], s[18:19], v[5:6]
                                        ; implicit-def: $vgpr7_vgpr8
	s_and_saveexec_b64 s[22:23], s[6:7]
	s_xor_b64 s[6:7], exec, s[22:23]
	s_cbranch_execz .LBB8_51
; %bb.50:                               ;   in Loop: Header=BB8_25 Depth=1
	v_add_f64 v[5:6], -v[19:20], 0
	v_add_f64 v[7:8], -v[17:18], 1.0
                                        ; implicit-def: $vgpr19_vgpr20
                                        ; implicit-def: $vgpr25_vgpr26
	v_mul_f64 v[13:14], v[11:12], v[5:6]
	v_mul_f64 v[11:12], v[11:12], v[7:8]
	v_fma_f64 v[7:8], v[9:10], v[7:8], -v[13:14]
	v_fma_f64 v[9:10], v[9:10], v[5:6], v[11:12]
                                        ; implicit-def: $vgpr11_vgpr12
	v_add_f64 v[5:6], v[41:42], -v[7:8]
	v_add_f64 v[7:8], v[43:44], -v[9:10]
                                        ; implicit-def: $vgpr9_vgpr10
.LBB8_51:                               ;   in Loop: Header=BB8_25 Depth=1
	s_andn2_saveexec_b64 s[6:7], s[6:7]
	s_cbranch_execz .LBB8_53
; %bb.52:                               ;   in Loop: Header=BB8_25 Depth=1
	v_mul_f64 v[5:6], v[11:12], v[19:20]
	v_mul_f64 v[7:8], v[11:12], v[17:18]
	v_fma_f64 v[5:6], v[9:10], v[17:18], -v[5:6]
	v_fma_f64 v[7:8], v[9:10], v[19:20], v[7:8]
	v_add_f64 v[5:6], v[25:26], v[5:6]
	v_add_f64 v[7:8], v[27:28], v[7:8]
.LBB8_53:                               ;   in Loop: Header=BB8_25 Depth=1
	s_or_b64 exec, exec, s[6:7]
	v_mul_f64 v[9:10], v[29:30], v[29:30]
	v_add_f64 v[13:14], v[45:46], -v[37:38]
	v_add_f64 v[15:16], v[47:48], -v[39:40]
	v_fma_f64 v[9:10], v[31:32], v[31:32], v[9:10]
	v_cmp_ngt_f64_e64 s[6:7], s[18:19], v[9:10]
                                        ; implicit-def: $vgpr11_vgpr12
	s_and_saveexec_b64 s[22:23], s[6:7]
	s_xor_b64 s[6:7], exec, s[22:23]
	s_cbranch_execnz .LBB8_59
; %bb.54:                               ;   in Loop: Header=BB8_25 Depth=1
	s_andn2_saveexec_b64 s[6:7], s[6:7]
	s_cbranch_execnz .LBB8_60
.LBB8_55:                               ;   in Loop: Header=BB8_25 Depth=1
	s_or_b64 exec, exec, s[6:7]
	s_and_saveexec_b64 s[6:7], vcc
	s_xor_b64 s[6:7], exec, s[6:7]
	s_cbranch_execnz .LBB8_61
.LBB8_56:                               ;   in Loop: Header=BB8_25 Depth=1
	s_or_b64 exec, exec, s[6:7]
	s_and_saveexec_b64 s[6:7], s[0:1]
	s_cbranch_execnz .LBB8_62
.LBB8_57:                               ;   in Loop: Header=BB8_25 Depth=1
	s_or_b64 exec, exec, s[6:7]
	s_and_saveexec_b64 s[0:1], s[2:3]
	s_cbranch_execnz .LBB8_63
.LBB8_58:                               ;   in Loop: Header=BB8_25 Depth=1
	s_or_b64 exec, exec, s[0:1]
	s_and_saveexec_b64 s[0:1], s[4:5]
	s_cbranch_execz .LBB8_24
	s_branch .LBB8_64
.LBB8_59:                               ;   in Loop: Header=BB8_25 Depth=1
	v_add_f64 v[9:10], -v[31:32], 0
	v_add_f64 v[11:12], -v[29:30], 1.0
                                        ; implicit-def: $vgpr31_vgpr32
                                        ; implicit-def: $vgpr37_vgpr38
	v_mul_f64 v[17:18], v[15:16], v[9:10]
	v_mul_f64 v[15:16], v[15:16], v[11:12]
	v_fma_f64 v[11:12], v[13:14], v[11:12], -v[17:18]
	v_fma_f64 v[13:14], v[13:14], v[9:10], v[15:16]
                                        ; implicit-def: $vgpr15_vgpr16
	v_add_f64 v[9:10], v[45:46], -v[11:12]
	v_add_f64 v[11:12], v[47:48], -v[13:14]
                                        ; implicit-def: $vgpr13_vgpr14
	s_andn2_saveexec_b64 s[6:7], s[6:7]
	s_cbranch_execz .LBB8_55
.LBB8_60:                               ;   in Loop: Header=BB8_25 Depth=1
	v_mul_f64 v[9:10], v[15:16], v[31:32]
	v_mul_f64 v[11:12], v[15:16], v[29:30]
	v_fma_f64 v[9:10], v[13:14], v[29:30], -v[9:10]
	v_fma_f64 v[11:12], v[13:14], v[31:32], v[11:12]
	v_add_f64 v[9:10], v[37:38], v[9:10]
	v_add_f64 v[11:12], v[39:40], v[11:12]
	s_or_b64 exec, exec, s[6:7]
	s_and_saveexec_b64 s[6:7], vcc
	s_xor_b64 s[6:7], exec, s[6:7]
	s_cbranch_execz .LBB8_56
.LBB8_61:                               ;   in Loop: Header=BB8_25 Depth=1
	v_lshlrev_b64 v[13:14], 4, v[53:54]
	v_mov_b32_e32 v15, s9
	v_add_co_u32_e32 v13, vcc, s8, v13
	v_addc_co_u32_e32 v14, vcc, v15, v14, vcc
	global_store_dwordx4 v[13:14], v[49:52], off
	s_or_b64 exec, exec, s[6:7]
	s_and_saveexec_b64 s[6:7], s[0:1]
	s_cbranch_execz .LBB8_57
.LBB8_62:                               ;   in Loop: Header=BB8_25 Depth=1
	v_lshlrev_b64 v[13:14], 4, v[55:56]
	v_mov_b32_e32 v15, s9
	v_add_co_u32_e32 v13, vcc, s8, v13
	v_addc_co_u32_e32 v14, vcc, v15, v14, vcc
	global_store_dwordx4 v[13:14], v[1:4], off
	s_or_b64 exec, exec, s[6:7]
	s_and_saveexec_b64 s[0:1], s[2:3]
	s_cbranch_execz .LBB8_58
.LBB8_63:                               ;   in Loop: Header=BB8_25 Depth=1
	v_lshlrev_b64 v[1:2], 4, v[57:58]
	v_mov_b32_e32 v3, s9
	v_add_co_u32_e32 v1, vcc, s8, v1
	v_addc_co_u32_e32 v2, vcc, v3, v2, vcc
	global_store_dwordx4 v[1:2], v[5:8], off
	s_or_b64 exec, exec, s[0:1]
	s_and_saveexec_b64 s[0:1], s[4:5]
	s_cbranch_execz .LBB8_24
.LBB8_64:                               ;   in Loop: Header=BB8_25 Depth=1
	v_lshlrev_b64 v[1:2], 4, v[59:60]
	v_mov_b32_e32 v3, s9
	v_add_co_u32_e32 v1, vcc, s8, v1
	v_addc_co_u32_e32 v2, vcc, v3, v2, vcc
	global_store_dwordx4 v[1:2], v[9:12], off
	s_branch .LBB8_24
.LBB8_65:
	s_endpgm
	.section	.rodata,"a",@progbits
	.p2align	6, 0x0
	.amdhsa_kernel _ZN2at6native12_GLOBAL__N_125multi_tensor_apply_kernelINS1_18TensorListMetadataILi3EEENS1_20TernaryOpListFunctorIN3c107complexIdEELi3ELi3ELi0EEEJNS0_11LerpFunctorIS8_EEEEEvT_T0_DpT1_
		.amdhsa_group_segment_fixed_size 0
		.amdhsa_private_segment_fixed_size 0
		.amdhsa_kernarg_size 3408
		.amdhsa_user_sgpr_count 6
		.amdhsa_user_sgpr_private_segment_buffer 1
		.amdhsa_user_sgpr_dispatch_ptr 0
		.amdhsa_user_sgpr_queue_ptr 0
		.amdhsa_user_sgpr_kernarg_segment_ptr 1
		.amdhsa_user_sgpr_dispatch_id 0
		.amdhsa_user_sgpr_flat_scratch_init 0
		.amdhsa_user_sgpr_private_segment_size 0
		.amdhsa_uses_dynamic_stack 0
		.amdhsa_system_sgpr_private_segment_wavefront_offset 0
		.amdhsa_system_sgpr_workgroup_id_x 1
		.amdhsa_system_sgpr_workgroup_id_y 0
		.amdhsa_system_sgpr_workgroup_id_z 0
		.amdhsa_system_sgpr_workgroup_info 0
		.amdhsa_system_vgpr_workitem_id 0
		.amdhsa_next_free_vgpr 65
		.amdhsa_next_free_sgpr 28
		.amdhsa_reserve_vcc 1
		.amdhsa_reserve_flat_scratch 0
		.amdhsa_float_round_mode_32 0
		.amdhsa_float_round_mode_16_64 0
		.amdhsa_float_denorm_mode_32 3
		.amdhsa_float_denorm_mode_16_64 3
		.amdhsa_dx10_clamp 1
		.amdhsa_ieee_mode 1
		.amdhsa_fp16_overflow 0
		.amdhsa_exception_fp_ieee_invalid_op 0
		.amdhsa_exception_fp_denorm_src 0
		.amdhsa_exception_fp_ieee_div_zero 0
		.amdhsa_exception_fp_ieee_overflow 0
		.amdhsa_exception_fp_ieee_underflow 0
		.amdhsa_exception_fp_ieee_inexact 0
		.amdhsa_exception_int_div_zero 0
	.end_amdhsa_kernel
	.section	.text._ZN2at6native12_GLOBAL__N_125multi_tensor_apply_kernelINS1_18TensorListMetadataILi3EEENS1_20TernaryOpListFunctorIN3c107complexIdEELi3ELi3ELi0EEEJNS0_11LerpFunctorIS8_EEEEEvT_T0_DpT1_,"axG",@progbits,_ZN2at6native12_GLOBAL__N_125multi_tensor_apply_kernelINS1_18TensorListMetadataILi3EEENS1_20TernaryOpListFunctorIN3c107complexIdEELi3ELi3ELi0EEEJNS0_11LerpFunctorIS8_EEEEEvT_T0_DpT1_,comdat
.Lfunc_end8:
	.size	_ZN2at6native12_GLOBAL__N_125multi_tensor_apply_kernelINS1_18TensorListMetadataILi3EEENS1_20TernaryOpListFunctorIN3c107complexIdEELi3ELi3ELi0EEEJNS0_11LerpFunctorIS8_EEEEEvT_T0_DpT1_, .Lfunc_end8-_ZN2at6native12_GLOBAL__N_125multi_tensor_apply_kernelINS1_18TensorListMetadataILi3EEENS1_20TernaryOpListFunctorIN3c107complexIdEELi3ELi3ELi0EEEJNS0_11LerpFunctorIS8_EEEEEvT_T0_DpT1_
                                        ; -- End function
	.set _ZN2at6native12_GLOBAL__N_125multi_tensor_apply_kernelINS1_18TensorListMetadataILi3EEENS1_20TernaryOpListFunctorIN3c107complexIdEELi3ELi3ELi0EEEJNS0_11LerpFunctorIS8_EEEEEvT_T0_DpT1_.num_vgpr, 65
	.set _ZN2at6native12_GLOBAL__N_125multi_tensor_apply_kernelINS1_18TensorListMetadataILi3EEENS1_20TernaryOpListFunctorIN3c107complexIdEELi3ELi3ELi0EEEJNS0_11LerpFunctorIS8_EEEEEvT_T0_DpT1_.num_agpr, 0
	.set _ZN2at6native12_GLOBAL__N_125multi_tensor_apply_kernelINS1_18TensorListMetadataILi3EEENS1_20TernaryOpListFunctorIN3c107complexIdEELi3ELi3ELi0EEEJNS0_11LerpFunctorIS8_EEEEEvT_T0_DpT1_.numbered_sgpr, 28
	.set _ZN2at6native12_GLOBAL__N_125multi_tensor_apply_kernelINS1_18TensorListMetadataILi3EEENS1_20TernaryOpListFunctorIN3c107complexIdEELi3ELi3ELi0EEEJNS0_11LerpFunctorIS8_EEEEEvT_T0_DpT1_.num_named_barrier, 0
	.set _ZN2at6native12_GLOBAL__N_125multi_tensor_apply_kernelINS1_18TensorListMetadataILi3EEENS1_20TernaryOpListFunctorIN3c107complexIdEELi3ELi3ELi0EEEJNS0_11LerpFunctorIS8_EEEEEvT_T0_DpT1_.private_seg_size, 0
	.set _ZN2at6native12_GLOBAL__N_125multi_tensor_apply_kernelINS1_18TensorListMetadataILi3EEENS1_20TernaryOpListFunctorIN3c107complexIdEELi3ELi3ELi0EEEJNS0_11LerpFunctorIS8_EEEEEvT_T0_DpT1_.uses_vcc, 1
	.set _ZN2at6native12_GLOBAL__N_125multi_tensor_apply_kernelINS1_18TensorListMetadataILi3EEENS1_20TernaryOpListFunctorIN3c107complexIdEELi3ELi3ELi0EEEJNS0_11LerpFunctorIS8_EEEEEvT_T0_DpT1_.uses_flat_scratch, 0
	.set _ZN2at6native12_GLOBAL__N_125multi_tensor_apply_kernelINS1_18TensorListMetadataILi3EEENS1_20TernaryOpListFunctorIN3c107complexIdEELi3ELi3ELi0EEEJNS0_11LerpFunctorIS8_EEEEEvT_T0_DpT1_.has_dyn_sized_stack, 0
	.set _ZN2at6native12_GLOBAL__N_125multi_tensor_apply_kernelINS1_18TensorListMetadataILi3EEENS1_20TernaryOpListFunctorIN3c107complexIdEELi3ELi3ELi0EEEJNS0_11LerpFunctorIS8_EEEEEvT_T0_DpT1_.has_recursion, 0
	.set _ZN2at6native12_GLOBAL__N_125multi_tensor_apply_kernelINS1_18TensorListMetadataILi3EEENS1_20TernaryOpListFunctorIN3c107complexIdEELi3ELi3ELi0EEEJNS0_11LerpFunctorIS8_EEEEEvT_T0_DpT1_.has_indirect_call, 0
	.section	.AMDGPU.csdata,"",@progbits
; Kernel info:
; codeLenInByte = 3136
; TotalNumSgprs: 32
; NumVgprs: 65
; ScratchSize: 0
; MemoryBound: 1
; FloatMode: 240
; IeeeMode: 1
; LDSByteSize: 0 bytes/workgroup (compile time only)
; SGPRBlocks: 3
; VGPRBlocks: 16
; NumSGPRsForWavesPerEU: 32
; NumVGPRsForWavesPerEU: 65
; Occupancy: 3
; WaveLimiterHint : 0
; COMPUTE_PGM_RSRC2:SCRATCH_EN: 0
; COMPUTE_PGM_RSRC2:USER_SGPR: 6
; COMPUTE_PGM_RSRC2:TRAP_HANDLER: 0
; COMPUTE_PGM_RSRC2:TGID_X_EN: 1
; COMPUTE_PGM_RSRC2:TGID_Y_EN: 0
; COMPUTE_PGM_RSRC2:TGID_Z_EN: 0
; COMPUTE_PGM_RSRC2:TIDIG_COMP_CNT: 0
	.section	.text._ZN2at6native12_GLOBAL__N_125multi_tensor_apply_kernelINS1_18TensorListMetadataILi3EEENS1_20TernaryOpListFunctorIN3c107complexIfEELi3ELi3ELi0EEEJNS0_11LerpFunctorIS8_EEEEEvT_T0_DpT1_,"axG",@progbits,_ZN2at6native12_GLOBAL__N_125multi_tensor_apply_kernelINS1_18TensorListMetadataILi3EEENS1_20TernaryOpListFunctorIN3c107complexIfEELi3ELi3ELi0EEEJNS0_11LerpFunctorIS8_EEEEEvT_T0_DpT1_,comdat
	.globl	_ZN2at6native12_GLOBAL__N_125multi_tensor_apply_kernelINS1_18TensorListMetadataILi3EEENS1_20TernaryOpListFunctorIN3c107complexIfEELi3ELi3ELi0EEEJNS0_11LerpFunctorIS8_EEEEEvT_T0_DpT1_ ; -- Begin function _ZN2at6native12_GLOBAL__N_125multi_tensor_apply_kernelINS1_18TensorListMetadataILi3EEENS1_20TernaryOpListFunctorIN3c107complexIfEELi3ELi3ELi0EEEJNS0_11LerpFunctorIS8_EEEEEvT_T0_DpT1_
	.p2align	8
	.type	_ZN2at6native12_GLOBAL__N_125multi_tensor_apply_kernelINS1_18TensorListMetadataILi3EEENS1_20TernaryOpListFunctorIN3c107complexIfEELi3ELi3ELi0EEEJNS0_11LerpFunctorIS8_EEEEEvT_T0_DpT1_,@function
_ZN2at6native12_GLOBAL__N_125multi_tensor_apply_kernelINS1_18TensorListMetadataILi3EEENS1_20TernaryOpListFunctorIN3c107complexIfEELi3ELi3ELi0EEEJNS0_11LerpFunctorIS8_EEEEEvT_T0_DpT1_: ; @_ZN2at6native12_GLOBAL__N_125multi_tensor_apply_kernelINS1_18TensorListMetadataILi3EEENS1_20TernaryOpListFunctorIN3c107complexIfEELi3ELi3ELi0EEEJNS0_11LerpFunctorIS8_EEEEEvT_T0_DpT1_
; %bb.0:
	v_mov_b32_e32 v1, s6
	global_load_ubyte v1, v1, s[4:5] offset:1536
	s_add_u32 s0, s4, s6
	s_mul_hi_u32 s1, s6, 3
	s_mul_i32 s6, s6, 3
	s_addc_u32 s2, s5, 0
	s_add_u32 s0, s0, s6
	s_addc_u32 s1, s2, s1
	s_load_dword s0, s[0:1], 0x740
	s_mov_b32 s3, 0
	s_mov_b32 s7, s3
	s_waitcnt lgkmcnt(0)
	s_ashr_i32 s1, s0, 31
	s_lshl_b64 s[12:13], s[0:1], 19
	s_waitcnt vmcnt(0)
	v_readfirstlane_b32 s2, v1
	s_lshl_b32 s2, s2, 3
	s_load_dwordx2 s[8:9], s[4:5], s2 offset:0x0
	s_load_dwordx2 s[10:11], s[4:5], s2 offset:0x180
	;; [unrolled: 1-line block ×4, first 2 shown]
	s_waitcnt lgkmcnt(0)
	s_add_u32 s8, s8, s12
	s_addc_u32 s9, s9, s13
	s_add_u32 s10, s10, s12
	s_addc_u32 s11, s11, s13
	;; [unrolled: 2-line block ×3, first 2 shown]
	s_or_b32 s6, s12, s10
	s_lshl_b64 s[0:1], s[0:1], 16
	s_and_b32 s2, s8, 31
	s_and_b32 s6, s6, 31
	s_cmp_lg_u32 s6, 0
	s_cselect_b64 s[16:17], -1, 0
	s_sub_u32 s0, s14, s0
	s_subb_u32 s1, s15, s1
	s_and_b32 s6, s14, 3
	s_or_b64 s[2:3], s[2:3], s[6:7]
	s_cmp_lg_u64 s[2:3], 0
	s_cselect_b64 s[2:3], -1, 0
	s_or_b64 s[2:3], s[16:17], s[2:3]
	s_andn2_b64 vcc, exec, s[2:3]
	s_mov_b64 s[2:3], -1
	s_cbranch_vccz .LBB9_21
; %bb.1:
	v_mov_b32_e32 v1, 0x10000
	v_mov_b32_e32 v2, 0
	v_cmp_lt_i64_e32 vcc, s[0:1], v[1:2]
	v_mov_b32_e32 v2, 0
	s_and_b64 s[2:3], vcc, exec
	s_cselect_b32 s3, s1, 0
	s_cselect_b32 s2, s0, 0x10000
	v_lshlrev_b32_e32 v1, 2, v0
	v_cmp_gt_i64_e32 vcc, s[2:3], v[1:2]
	s_and_saveexec_b64 s[6:7], vcc
	s_cbranch_execz .LBB9_20
; %bb.2:
	s_load_dword s16, s[4:5], 0xc5c
	v_mov_b32_e32 v1, v2
	v_mov_b32_e32 v30, v1
	v_lshlrev_b32_e32 v33, 5, v0
	s_mov_b64 s[14:15], 0
	s_waitcnt lgkmcnt(0)
	s_and_b32 s25, s16, 0xffff
	s_mov_b32 s24, 0x3e800000
	s_lshl_b32 s26, s25, 5
	s_mov_b64 s[16:17], s[10:11]
	s_mov_b64 s[18:19], s[8:9]
	;; [unrolled: 1-line block ×3, first 2 shown]
	v_mov_b32_e32 v29, v0
	s_branch .LBB9_4
.LBB9_3:                                ;   in Loop: Header=BB9_4 Depth=1
	s_or_b64 exec, exec, s[22:23]
	v_add_co_u32_e32 v29, vcc, s25, v29
	s_add_u32 s20, s20, s26
	v_addc_co_u32_e32 v30, vcc, 0, v30, vcc
	s_addc_u32 s21, s21, 0
	v_lshlrev_b64 v[1:2], 2, v[29:30]
	s_add_u32 s18, s18, s26
	s_addc_u32 s19, s19, 0
	s_add_u32 s16, s16, s26
	v_cmp_le_i64_e32 vcc, s[2:3], v[1:2]
	s_addc_u32 s17, s17, 0
	s_or_b64 s[14:15], vcc, s[14:15]
	global_store_dwordx4 v[31:32], v[9:12], off
	global_store_dwordx4 v[31:32], v[17:20], off offset:16
	s_andn2_b64 exec, exec, s[14:15]
	s_cbranch_execz .LBB9_20
.LBB9_4:                                ; =>This Inner Loop Header: Depth=1
	v_mov_b32_e32 v1, s19
	v_add_co_u32_e32 v31, vcc, s18, v33
	v_addc_co_u32_e32 v32, vcc, 0, v1, vcc
	v_mov_b32_e32 v1, s17
	v_add_co_u32_e32 v9, vcc, s16, v33
	v_addc_co_u32_e32 v10, vcc, 0, v1, vcc
	global_load_dwordx4 v[25:28], v[9:10], off
	v_mov_b32_e32 v1, s21
	v_add_co_u32_e32 v11, vcc, s20, v33
	v_addc_co_u32_e32 v12, vcc, 0, v1, vcc
	global_load_dwordx4 v[17:20], v[11:12], off
	global_load_dwordx4 v[21:24], v[31:32], off
	global_load_dwordx4 v[5:8], v[31:32], off offset:16
	global_load_dwordx4 v[1:4], v[11:12], off offset:16
	;; [unrolled: 1-line block ×3, first 2 shown]
	s_waitcnt vmcnt(4)
	v_mul_f32_e32 v9, v18, v18
	v_fmac_f32_e32 v9, v17, v17
	s_waitcnt vmcnt(3)
	v_sub_f32_e32 v12, v25, v21
	v_cmp_ngt_f32_e32 vcc, s24, v9
	v_sub_f32_e32 v11, v26, v22
                                        ; implicit-def: $vgpr10
	s_and_saveexec_b64 s[22:23], vcc
	s_xor_b64 s[22:23], exec, s[22:23]
; %bb.5:                                ;   in Loop: Header=BB9_4 Depth=1
	v_sub_f32_e32 v9, 1.0, v17
	v_mul_f32_e64 v10, v11, -v18
	v_fma_f32 v10, v12, v9, -v10
	v_mul_f32_e64 v12, v12, -v18
	v_fmac_f32_e32 v12, v11, v9
	v_sub_f32_e32 v9, v25, v10
	v_sub_f32_e32 v10, v26, v12
                                        ; implicit-def: $vgpr11
                                        ; implicit-def: $vgpr12
; %bb.6:                                ;   in Loop: Header=BB9_4 Depth=1
	s_andn2_saveexec_b64 s[22:23], s[22:23]
; %bb.7:                                ;   in Loop: Header=BB9_4 Depth=1
	v_mul_f32_e32 v9, v11, v18
	v_mul_f32_e32 v10, v12, v18
	v_fma_f32 v9, v12, v17, -v9
	v_fmac_f32_e32 v10, v11, v17
	v_add_f32_e32 v9, v21, v9
	v_add_f32_e32 v10, v22, v10
; %bb.8:                                ;   in Loop: Header=BB9_4 Depth=1
	s_or_b64 exec, exec, s[22:23]
	v_mul_f32_e32 v11, v20, v20
	v_fmac_f32_e32 v11, v19, v19
	v_cmp_ngt_f32_e32 vcc, s24, v11
	v_sub_f32_e32 v17, v27, v23
	v_sub_f32_e32 v25, v28, v24
	s_and_saveexec_b64 s[22:23], vcc
	s_xor_b64 s[22:23], exec, s[22:23]
; %bb.9:                                ;   in Loop: Header=BB9_4 Depth=1
	v_sub_f32_e32 v11, 1.0, v19
	v_mul_f32_e64 v12, v25, -v20
	v_fma_f32 v12, v17, v11, -v12
	v_mul_f32_e64 v17, v17, -v20
	v_fmac_f32_e32 v17, v25, v11
	v_sub_f32_e32 v11, v27, v12
	v_sub_f32_e32 v12, v28, v17
                                        ; implicit-def: $vgpr17_vgpr18_vgpr19_vgpr20
                                        ; implicit-def: $vgpr25
                                        ; implicit-def: $vgpr17
                                        ; implicit-def: $vgpr21_vgpr22_vgpr23_vgpr24
; %bb.10:                               ;   in Loop: Header=BB9_4 Depth=1
	s_andn2_saveexec_b64 s[22:23], s[22:23]
; %bb.11:                               ;   in Loop: Header=BB9_4 Depth=1
	v_mul_f32_e32 v11, v25, v20
	v_mul_f32_e32 v12, v17, v20
	v_fma_f32 v11, v17, v19, -v11
	v_fmac_f32_e32 v12, v25, v19
	v_add_f32_e32 v11, v23, v11
	v_add_f32_e32 v12, v24, v12
; %bb.12:                               ;   in Loop: Header=BB9_4 Depth=1
	s_or_b64 exec, exec, s[22:23]
	s_waitcnt vmcnt(1)
	v_mul_f32_e32 v17, v2, v2
	v_fmac_f32_e32 v17, v1, v1
	v_cmp_ngt_f32_e32 vcc, s24, v17
	s_waitcnt vmcnt(0)
	v_sub_f32_e32 v20, v13, v5
	v_sub_f32_e32 v19, v14, v6
                                        ; implicit-def: $vgpr18
	s_and_saveexec_b64 s[22:23], vcc
	s_xor_b64 s[22:23], exec, s[22:23]
; %bb.13:                               ;   in Loop: Header=BB9_4 Depth=1
	v_sub_f32_e32 v17, 1.0, v1
	v_mul_f32_e64 v18, v19, -v2
	v_fma_f32 v18, v20, v17, -v18
	v_mul_f32_e64 v20, v20, -v2
	v_fmac_f32_e32 v20, v19, v17
	v_sub_f32_e32 v17, v13, v18
	v_sub_f32_e32 v18, v14, v20
                                        ; implicit-def: $vgpr19
                                        ; implicit-def: $vgpr20
; %bb.14:                               ;   in Loop: Header=BB9_4 Depth=1
	s_andn2_saveexec_b64 s[22:23], s[22:23]
; %bb.15:                               ;   in Loop: Header=BB9_4 Depth=1
	v_mul_f32_e32 v13, v19, v2
	v_mul_f32_e32 v2, v20, v2
	v_fma_f32 v13, v20, v1, -v13
	v_fmac_f32_e32 v2, v19, v1
	v_add_f32_e32 v17, v5, v13
	v_add_f32_e32 v18, v6, v2
; %bb.16:                               ;   in Loop: Header=BB9_4 Depth=1
	s_or_b64 exec, exec, s[22:23]
	v_mul_f32_e32 v1, v4, v4
	v_fmac_f32_e32 v1, v3, v3
	v_cmp_ngt_f32_e32 vcc, s24, v1
	v_sub_f32_e32 v1, v15, v7
	v_sub_f32_e32 v13, v16, v8
	s_and_saveexec_b64 s[22:23], vcc
	s_xor_b64 s[22:23], exec, s[22:23]
; %bb.17:                               ;   in Loop: Header=BB9_4 Depth=1
	v_sub_f32_e32 v2, 1.0, v3
	v_mul_f32_e64 v3, v13, -v4
	v_fma_f32 v3, v1, v2, -v3
	v_mul_f32_e64 v1, v1, -v4
	v_fmac_f32_e32 v1, v13, v2
	v_sub_f32_e32 v19, v15, v3
	v_sub_f32_e32 v20, v16, v1
                                        ; implicit-def: $vgpr1_vgpr2_vgpr3_vgpr4
                                        ; implicit-def: $vgpr13
                                        ; implicit-def: $vgpr1
                                        ; implicit-def: $vgpr5_vgpr6_vgpr7_vgpr8
; %bb.18:                               ;   in Loop: Header=BB9_4 Depth=1
	s_andn2_saveexec_b64 s[22:23], s[22:23]
	s_cbranch_execz .LBB9_3
; %bb.19:                               ;   in Loop: Header=BB9_4 Depth=1
	v_mul_f32_e32 v2, v13, v4
	v_fma_f32 v2, v1, v3, -v2
	v_mul_f32_e32 v1, v1, v4
	v_fmac_f32_e32 v1, v13, v3
	v_add_f32_e32 v19, v7, v2
	v_add_f32_e32 v20, v8, v1
	s_branch .LBB9_3
.LBB9_20:
	s_or_b64 exec, exec, s[6:7]
	s_mov_b64 s[2:3], 0
.LBB9_21:
	s_andn2_b64 vcc, exec, s[2:3]
	s_cbranch_vccnz .LBB9_65
; %bb.22:
	v_cmp_lt_i64_e64 s[2:3], s[0:1], 1
	s_and_b64 vcc, exec, s[2:3]
	s_cbranch_vccnz .LBB9_65
; %bb.23:
	v_mov_b32_e32 v1, 0x10000
	s_load_dword s4, s[4:5], 0xc5c
	v_mov_b32_e32 v2, 0
	v_cmp_lt_i64_e32 vcc, s[0:1], v[1:2]
	s_mov_b64 s[18:19], 0
	s_and_b64 s[2:3], vcc, exec
	v_cmp_lt_u64_e32 vcc, s[0:1], v[1:2]
	s_cselect_b32 s15, s1, 0
	s_cselect_b32 s14, s0, 0x10000
	s_waitcnt lgkmcnt(0)
	s_and_b32 s22, s4, 0xffff
	s_and_b64 s[2:3], vcc, exec
	s_cselect_b32 s17, s1, 0
	s_cselect_b32 s16, s0, 0x10000
	s_lshl_b32 s23, s22, 1
	s_mul_i32 s24, s22, 3
	s_lshl_b32 s25, s22, 2
	s_mov_b32 s26, 0x3e800000
	s_branch .LBB9_25
.LBB9_24:                               ;   in Loop: Header=BB9_25 Depth=1
	s_or_b64 exec, exec, s[0:1]
	s_add_u32 s18, s18, s25
	v_mov_b32_e32 v1, s14
	s_addc_u32 s19, s19, 0
	v_mov_b32_e32 v2, s15
	v_cmp_ge_i64_e32 vcc, s[18:19], v[1:2]
	s_cbranch_vccnz .LBB9_65
.LBB9_25:                               ; =>This Inner Loop Header: Depth=1
	v_mov_b32_e32 v2, s19
	v_add_co_u32_e32 v1, vcc, s18, v0
	v_addc_co_u32_e32 v2, vcc, 0, v2, vcc
	v_cmp_gt_u64_e32 vcc, s[16:17], v[1:2]
	v_mov_b32_e32 v24, 0
	v_mov_b32_e32 v23, 0
	;; [unrolled: 1-line block ×4, first 2 shown]
	s_and_saveexec_b64 s[2:3], vcc
	s_cbranch_execz .LBB9_27
; %bb.26:                               ;   in Loop: Header=BB9_25 Depth=1
	v_lshlrev_b64 v[3:4], 3, v[1:2]
	v_mov_b32_e32 v6, s11
	v_add_co_u32_e64 v5, s[0:1], s10, v3
	v_addc_co_u32_e64 v6, s[0:1], v6, v4, s[0:1]
	v_mov_b32_e32 v7, s9
	v_add_co_u32_e64 v3, s[0:1], s8, v3
	v_addc_co_u32_e64 v4, s[0:1], v7, v4, s[0:1]
	global_load_dwordx2 v[15:16], v[3:4], off
	global_load_dwordx2 v[23:24], v[5:6], off
.LBB9_27:                               ;   in Loop: Header=BB9_25 Depth=1
	s_or_b64 exec, exec, s[2:3]
	v_mov_b32_e32 v10, 0
	v_mov_b32_e32 v26, 0
	;; [unrolled: 1-line block ×3, first 2 shown]
	s_and_saveexec_b64 s[2:3], vcc
	s_cbranch_execz .LBB9_29
; %bb.28:                               ;   in Loop: Header=BB9_25 Depth=1
	v_lshlrev_b64 v[3:4], 3, v[1:2]
	v_mov_b32_e32 v5, s13
	v_add_co_u32_e64 v3, s[0:1], s12, v3
	v_addc_co_u32_e64 v4, s[0:1], v5, v4, s[0:1]
	global_load_dwordx2 v[25:26], v[3:4], off
.LBB9_29:                               ;   in Loop: Header=BB9_25 Depth=1
	s_or_b64 exec, exec, s[2:3]
	v_add_co_u32_e64 v3, s[0:1], s22, v1
	v_addc_co_u32_e64 v4, s[0:1], 0, v2, s[0:1]
	v_cmp_gt_u64_e64 s[0:1], s[16:17], v[3:4]
	v_mov_b32_e32 v9, 0
	v_mov_b32_e32 v18, 0
	;; [unrolled: 1-line block ×3, first 2 shown]
	s_and_saveexec_b64 s[4:5], s[0:1]
	s_cbranch_execz .LBB9_31
; %bb.30:                               ;   in Loop: Header=BB9_25 Depth=1
	v_lshlrev_b64 v[5:6], 3, v[3:4]
	v_mov_b32_e32 v8, s11
	v_add_co_u32_e64 v7, s[2:3], s10, v5
	v_addc_co_u32_e64 v8, s[2:3], v8, v6, s[2:3]
	v_mov_b32_e32 v9, s9
	v_add_co_u32_e64 v5, s[2:3], s8, v5
	v_addc_co_u32_e64 v6, s[2:3], v9, v6, s[2:3]
	global_load_dwordx2 v[17:18], v[5:6], off
	global_load_dwordx2 v[9:10], v[7:8], off
.LBB9_31:                               ;   in Loop: Header=BB9_25 Depth=1
	s_or_b64 exec, exec, s[4:5]
	v_mov_b32_e32 v12, 0
	v_mov_b32_e32 v28, 0
	;; [unrolled: 1-line block ×3, first 2 shown]
	s_and_saveexec_b64 s[4:5], s[0:1]
	s_cbranch_execz .LBB9_33
; %bb.32:                               ;   in Loop: Header=BB9_25 Depth=1
	v_lshlrev_b64 v[5:6], 3, v[3:4]
	v_mov_b32_e32 v7, s13
	v_add_co_u32_e64 v5, s[2:3], s12, v5
	v_addc_co_u32_e64 v6, s[2:3], v7, v6, s[2:3]
	global_load_dwordx2 v[27:28], v[5:6], off
.LBB9_33:                               ;   in Loop: Header=BB9_25 Depth=1
	s_or_b64 exec, exec, s[4:5]
	v_add_co_u32_e64 v5, s[2:3], s23, v1
	v_addc_co_u32_e64 v6, s[2:3], 0, v2, s[2:3]
	v_cmp_gt_u64_e64 s[2:3], s[16:17], v[5:6]
	v_mov_b32_e32 v11, 0
	v_mov_b32_e32 v20, 0
	;; [unrolled: 1-line block ×3, first 2 shown]
	s_and_saveexec_b64 s[6:7], s[2:3]
	s_cbranch_execz .LBB9_35
; %bb.34:                               ;   in Loop: Header=BB9_25 Depth=1
	v_lshlrev_b64 v[7:8], 3, v[5:6]
	v_mov_b32_e32 v11, s11
	v_add_co_u32_e64 v13, s[4:5], s10, v7
	v_addc_co_u32_e64 v14, s[4:5], v11, v8, s[4:5]
	v_mov_b32_e32 v11, s9
	v_add_co_u32_e64 v7, s[4:5], s8, v7
	v_addc_co_u32_e64 v8, s[4:5], v11, v8, s[4:5]
	global_load_dwordx2 v[19:20], v[7:8], off
	global_load_dwordx2 v[11:12], v[13:14], off
.LBB9_35:                               ;   in Loop: Header=BB9_25 Depth=1
	s_or_b64 exec, exec, s[6:7]
	v_mov_b32_e32 v14, 0
	v_mov_b32_e32 v30, 0
	;; [unrolled: 1-line block ×3, first 2 shown]
	s_and_saveexec_b64 s[6:7], s[2:3]
	s_cbranch_execz .LBB9_37
; %bb.36:                               ;   in Loop: Header=BB9_25 Depth=1
	v_lshlrev_b64 v[7:8], 3, v[5:6]
	v_mov_b32_e32 v13, s13
	v_add_co_u32_e64 v7, s[4:5], s12, v7
	v_addc_co_u32_e64 v8, s[4:5], v13, v8, s[4:5]
	global_load_dwordx2 v[29:30], v[7:8], off
.LBB9_37:                               ;   in Loop: Header=BB9_25 Depth=1
	s_or_b64 exec, exec, s[6:7]
	v_add_co_u32_e64 v7, s[4:5], s24, v1
	v_addc_co_u32_e64 v8, s[4:5], 0, v2, s[4:5]
	v_cmp_gt_u64_e64 s[4:5], s[16:17], v[7:8]
	v_mov_b32_e32 v13, 0
	v_mov_b32_e32 v22, 0
	;; [unrolled: 1-line block ×3, first 2 shown]
	s_and_saveexec_b64 s[20:21], s[4:5]
	s_cbranch_execz .LBB9_39
; %bb.38:                               ;   in Loop: Header=BB9_25 Depth=1
	v_lshlrev_b64 v[13:14], 3, v[7:8]
	v_mov_b32_e32 v21, s11
	v_add_co_u32_e64 v31, s[6:7], s10, v13
	v_addc_co_u32_e64 v32, s[6:7], v21, v14, s[6:7]
	v_mov_b32_e32 v21, s9
	v_add_co_u32_e64 v33, s[6:7], s8, v13
	v_addc_co_u32_e64 v34, s[6:7], v21, v14, s[6:7]
	global_load_dwordx2 v[21:22], v[33:34], off
	global_load_dwordx2 v[13:14], v[31:32], off
.LBB9_39:                               ;   in Loop: Header=BB9_25 Depth=1
	s_or_b64 exec, exec, s[20:21]
	v_mov_b32_e32 v32, 0
	v_mov_b32_e32 v31, 0
	s_and_saveexec_b64 s[20:21], s[4:5]
	s_cbranch_execz .LBB9_41
; %bb.40:                               ;   in Loop: Header=BB9_25 Depth=1
	v_lshlrev_b64 v[31:32], 3, v[7:8]
	v_mov_b32_e32 v33, s13
	v_add_co_u32_e64 v31, s[6:7], s12, v31
	v_addc_co_u32_e64 v32, s[6:7], v33, v32, s[6:7]
	global_load_dwordx2 v[31:32], v[31:32], off
.LBB9_41:                               ;   in Loop: Header=BB9_25 Depth=1
	s_or_b64 exec, exec, s[20:21]
	s_waitcnt vmcnt(0)
	v_mul_f32_e32 v33, v25, v25
	v_fmac_f32_e32 v33, v26, v26
	v_cmp_ngt_f32_e64 s[6:7], s26, v33
	v_sub_f32_e32 v35, v23, v15
	v_sub_f32_e32 v36, v24, v16
                                        ; implicit-def: $vgpr34
	s_and_saveexec_b64 s[20:21], s[6:7]
	s_xor_b64 s[6:7], exec, s[20:21]
; %bb.42:                               ;   in Loop: Header=BB9_25 Depth=1
	v_sub_f32_e32 v15, 1.0, v25
	v_mul_f32_e64 v25, v36, -v26
	v_sub_f32_e32 v16, 0, v26
	v_fma_f32 v25, v35, v15, -v25
	v_mul_f32_e32 v15, v36, v15
	v_fmac_f32_e32 v15, v35, v16
	v_sub_f32_e32 v33, v23, v25
	v_sub_f32_e32 v34, v24, v15
                                        ; implicit-def: $vgpr36
                                        ; implicit-def: $vgpr26
                                        ; implicit-def: $vgpr35
                                        ; implicit-def: $vgpr15
; %bb.43:                               ;   in Loop: Header=BB9_25 Depth=1
	s_andn2_saveexec_b64 s[6:7], s[6:7]
; %bb.44:                               ;   in Loop: Header=BB9_25 Depth=1
	v_mul_f32_e32 v23, v36, v26
	v_mul_f32_e32 v24, v36, v25
	v_fma_f32 v23, v35, v25, -v23
	v_fmac_f32_e32 v24, v35, v26
	v_add_f32_e32 v33, v15, v23
	v_add_f32_e32 v34, v16, v24
; %bb.45:                               ;   in Loop: Header=BB9_25 Depth=1
	s_or_b64 exec, exec, s[6:7]
	v_mul_f32_e32 v15, v27, v27
	v_fmac_f32_e32 v15, v28, v28
	v_cmp_ngt_f32_e64 s[6:7], s26, v15
	v_sub_f32_e32 v23, v9, v17
	v_sub_f32_e32 v24, v10, v18
                                        ; implicit-def: $vgpr16
	s_and_saveexec_b64 s[20:21], s[6:7]
	s_xor_b64 s[6:7], exec, s[20:21]
; %bb.46:                               ;   in Loop: Header=BB9_25 Depth=1
	v_sub_f32_e32 v15, 1.0, v27
	v_sub_f32_e32 v16, 0, v28
	v_mul_f32_e64 v17, v24, -v28
	v_mul_f32_e32 v18, v24, v15
	v_fma_f32 v17, v23, v15, -v17
	v_fmac_f32_e32 v18, v23, v16
	v_sub_f32_e32 v15, v9, v17
	v_sub_f32_e32 v16, v10, v18
                                        ; implicit-def: $vgpr24
                                        ; implicit-def: $vgpr28
                                        ; implicit-def: $vgpr23
                                        ; implicit-def: $vgpr17
; %bb.47:                               ;   in Loop: Header=BB9_25 Depth=1
	s_andn2_saveexec_b64 s[6:7], s[6:7]
; %bb.48:                               ;   in Loop: Header=BB9_25 Depth=1
	v_mul_f32_e32 v9, v24, v28
	v_mul_f32_e32 v10, v24, v27
	v_fma_f32 v9, v23, v27, -v9
	v_fmac_f32_e32 v10, v23, v28
	v_add_f32_e32 v15, v17, v9
	v_add_f32_e32 v16, v18, v10
; %bb.49:                               ;   in Loop: Header=BB9_25 Depth=1
	s_or_b64 exec, exec, s[6:7]
	v_mul_f32_e32 v9, v29, v29
	v_fmac_f32_e32 v9, v30, v30
	v_cmp_ngt_f32_e64 s[6:7], s26, v9
	v_sub_f32_e32 v17, v11, v19
	v_sub_f32_e32 v18, v12, v20
                                        ; implicit-def: $vgpr10
	s_and_saveexec_b64 s[20:21], s[6:7]
	s_xor_b64 s[6:7], exec, s[20:21]
; %bb.50:                               ;   in Loop: Header=BB9_25 Depth=1
	v_sub_f32_e32 v9, 1.0, v29
	v_sub_f32_e32 v10, 0, v30
	v_mul_f32_e64 v19, v18, -v30
	v_mul_f32_e32 v18, v18, v9
	v_fma_f32 v19, v17, v9, -v19
	v_fmac_f32_e32 v18, v17, v10
	v_sub_f32_e32 v9, v11, v19
	v_sub_f32_e32 v10, v12, v18
                                        ; implicit-def: $vgpr18
                                        ; implicit-def: $vgpr30
                                        ; implicit-def: $vgpr17
                                        ; implicit-def: $vgpr19
; %bb.51:                               ;   in Loop: Header=BB9_25 Depth=1
	s_andn2_saveexec_b64 s[6:7], s[6:7]
; %bb.52:                               ;   in Loop: Header=BB9_25 Depth=1
	v_mul_f32_e32 v9, v18, v30
	v_mul_f32_e32 v10, v18, v29
	v_fma_f32 v9, v17, v29, -v9
	v_fmac_f32_e32 v10, v17, v30
	v_add_f32_e32 v9, v19, v9
	v_add_f32_e32 v10, v20, v10
; %bb.53:                               ;   in Loop: Header=BB9_25 Depth=1
	s_or_b64 exec, exec, s[6:7]
	v_mul_f32_e32 v11, v31, v31
	v_fmac_f32_e32 v11, v32, v32
	v_cmp_ngt_f32_e64 s[6:7], s26, v11
	v_sub_f32_e32 v17, v13, v21
	v_sub_f32_e32 v18, v14, v22
                                        ; implicit-def: $vgpr12
	s_and_saveexec_b64 s[20:21], s[6:7]
	s_xor_b64 s[6:7], exec, s[20:21]
	s_cbranch_execnz .LBB9_59
; %bb.54:                               ;   in Loop: Header=BB9_25 Depth=1
	s_andn2_saveexec_b64 s[6:7], s[6:7]
	s_cbranch_execnz .LBB9_60
.LBB9_55:                               ;   in Loop: Header=BB9_25 Depth=1
	s_or_b64 exec, exec, s[6:7]
	s_and_saveexec_b64 s[6:7], vcc
	s_xor_b64 s[6:7], exec, s[6:7]
	s_cbranch_execnz .LBB9_61
.LBB9_56:                               ;   in Loop: Header=BB9_25 Depth=1
	s_or_b64 exec, exec, s[6:7]
	s_and_saveexec_b64 s[6:7], s[0:1]
	s_cbranch_execnz .LBB9_62
.LBB9_57:                               ;   in Loop: Header=BB9_25 Depth=1
	s_or_b64 exec, exec, s[6:7]
	s_and_saveexec_b64 s[0:1], s[2:3]
	s_cbranch_execnz .LBB9_63
.LBB9_58:                               ;   in Loop: Header=BB9_25 Depth=1
	s_or_b64 exec, exec, s[0:1]
	s_and_saveexec_b64 s[0:1], s[4:5]
	s_cbranch_execz .LBB9_24
	s_branch .LBB9_64
.LBB9_59:                               ;   in Loop: Header=BB9_25 Depth=1
	v_sub_f32_e32 v11, 1.0, v31
	v_sub_f32_e32 v12, 0, v32
	v_mul_f32_e64 v19, v18, -v32
	v_mul_f32_e32 v18, v18, v11
	v_fma_f32 v19, v17, v11, -v19
	v_fmac_f32_e32 v18, v17, v12
	v_sub_f32_e32 v11, v13, v19
	v_sub_f32_e32 v12, v14, v18
                                        ; implicit-def: $vgpr18
                                        ; implicit-def: $vgpr32
                                        ; implicit-def: $vgpr17
                                        ; implicit-def: $vgpr21
	s_andn2_saveexec_b64 s[6:7], s[6:7]
	s_cbranch_execz .LBB9_55
.LBB9_60:                               ;   in Loop: Header=BB9_25 Depth=1
	v_mul_f32_e32 v11, v18, v32
	v_mul_f32_e32 v12, v18, v31
	v_fma_f32 v11, v17, v31, -v11
	v_fmac_f32_e32 v12, v17, v32
	v_add_f32_e32 v11, v21, v11
	v_add_f32_e32 v12, v22, v12
	s_or_b64 exec, exec, s[6:7]
	s_and_saveexec_b64 s[6:7], vcc
	s_xor_b64 s[6:7], exec, s[6:7]
	s_cbranch_execz .LBB9_56
.LBB9_61:                               ;   in Loop: Header=BB9_25 Depth=1
	v_lshlrev_b64 v[1:2], 3, v[1:2]
	v_mov_b32_e32 v13, s9
	v_add_co_u32_e32 v1, vcc, s8, v1
	v_addc_co_u32_e32 v2, vcc, v13, v2, vcc
	global_store_dwordx2 v[1:2], v[33:34], off
	s_or_b64 exec, exec, s[6:7]
	s_and_saveexec_b64 s[6:7], s[0:1]
	s_cbranch_execz .LBB9_57
.LBB9_62:                               ;   in Loop: Header=BB9_25 Depth=1
	v_lshlrev_b64 v[1:2], 3, v[3:4]
	v_mov_b32_e32 v3, s9
	v_add_co_u32_e32 v1, vcc, s8, v1
	v_addc_co_u32_e32 v2, vcc, v3, v2, vcc
	global_store_dwordx2 v[1:2], v[15:16], off
	s_or_b64 exec, exec, s[6:7]
	s_and_saveexec_b64 s[0:1], s[2:3]
	s_cbranch_execz .LBB9_58
.LBB9_63:                               ;   in Loop: Header=BB9_25 Depth=1
	v_lshlrev_b64 v[1:2], 3, v[5:6]
	v_mov_b32_e32 v3, s9
	v_add_co_u32_e32 v1, vcc, s8, v1
	v_addc_co_u32_e32 v2, vcc, v3, v2, vcc
	global_store_dwordx2 v[1:2], v[9:10], off
	s_or_b64 exec, exec, s[0:1]
	s_and_saveexec_b64 s[0:1], s[4:5]
	s_cbranch_execz .LBB9_24
.LBB9_64:                               ;   in Loop: Header=BB9_25 Depth=1
	v_lshlrev_b64 v[1:2], 3, v[7:8]
	v_mov_b32_e32 v3, s9
	v_add_co_u32_e32 v1, vcc, s8, v1
	v_addc_co_u32_e32 v2, vcc, v3, v2, vcc
	global_store_dwordx2 v[1:2], v[11:12], off
	s_branch .LBB9_24
.LBB9_65:
	s_endpgm
	.section	.rodata,"a",@progbits
	.p2align	6, 0x0
	.amdhsa_kernel _ZN2at6native12_GLOBAL__N_125multi_tensor_apply_kernelINS1_18TensorListMetadataILi3EEENS1_20TernaryOpListFunctorIN3c107complexIfEELi3ELi3ELi0EEEJNS0_11LerpFunctorIS8_EEEEEvT_T0_DpT1_
		.amdhsa_group_segment_fixed_size 0
		.amdhsa_private_segment_fixed_size 0
		.amdhsa_kernarg_size 3408
		.amdhsa_user_sgpr_count 6
		.amdhsa_user_sgpr_private_segment_buffer 1
		.amdhsa_user_sgpr_dispatch_ptr 0
		.amdhsa_user_sgpr_queue_ptr 0
		.amdhsa_user_sgpr_kernarg_segment_ptr 1
		.amdhsa_user_sgpr_dispatch_id 0
		.amdhsa_user_sgpr_flat_scratch_init 0
		.amdhsa_user_sgpr_private_segment_size 0
		.amdhsa_uses_dynamic_stack 0
		.amdhsa_system_sgpr_private_segment_wavefront_offset 0
		.amdhsa_system_sgpr_workgroup_id_x 1
		.amdhsa_system_sgpr_workgroup_id_y 0
		.amdhsa_system_sgpr_workgroup_id_z 0
		.amdhsa_system_sgpr_workgroup_info 0
		.amdhsa_system_vgpr_workitem_id 0
		.amdhsa_next_free_vgpr 37
		.amdhsa_next_free_sgpr 27
		.amdhsa_reserve_vcc 1
		.amdhsa_reserve_flat_scratch 0
		.amdhsa_float_round_mode_32 0
		.amdhsa_float_round_mode_16_64 0
		.amdhsa_float_denorm_mode_32 3
		.amdhsa_float_denorm_mode_16_64 3
		.amdhsa_dx10_clamp 1
		.amdhsa_ieee_mode 1
		.amdhsa_fp16_overflow 0
		.amdhsa_exception_fp_ieee_invalid_op 0
		.amdhsa_exception_fp_denorm_src 0
		.amdhsa_exception_fp_ieee_div_zero 0
		.amdhsa_exception_fp_ieee_overflow 0
		.amdhsa_exception_fp_ieee_underflow 0
		.amdhsa_exception_fp_ieee_inexact 0
		.amdhsa_exception_int_div_zero 0
	.end_amdhsa_kernel
	.section	.text._ZN2at6native12_GLOBAL__N_125multi_tensor_apply_kernelINS1_18TensorListMetadataILi3EEENS1_20TernaryOpListFunctorIN3c107complexIfEELi3ELi3ELi0EEEJNS0_11LerpFunctorIS8_EEEEEvT_T0_DpT1_,"axG",@progbits,_ZN2at6native12_GLOBAL__N_125multi_tensor_apply_kernelINS1_18TensorListMetadataILi3EEENS1_20TernaryOpListFunctorIN3c107complexIfEELi3ELi3ELi0EEEJNS0_11LerpFunctorIS8_EEEEEvT_T0_DpT1_,comdat
.Lfunc_end9:
	.size	_ZN2at6native12_GLOBAL__N_125multi_tensor_apply_kernelINS1_18TensorListMetadataILi3EEENS1_20TernaryOpListFunctorIN3c107complexIfEELi3ELi3ELi0EEEJNS0_11LerpFunctorIS8_EEEEEvT_T0_DpT1_, .Lfunc_end9-_ZN2at6native12_GLOBAL__N_125multi_tensor_apply_kernelINS1_18TensorListMetadataILi3EEENS1_20TernaryOpListFunctorIN3c107complexIfEELi3ELi3ELi0EEEJNS0_11LerpFunctorIS8_EEEEEvT_T0_DpT1_
                                        ; -- End function
	.set _ZN2at6native12_GLOBAL__N_125multi_tensor_apply_kernelINS1_18TensorListMetadataILi3EEENS1_20TernaryOpListFunctorIN3c107complexIfEELi3ELi3ELi0EEEJNS0_11LerpFunctorIS8_EEEEEvT_T0_DpT1_.num_vgpr, 37
	.set _ZN2at6native12_GLOBAL__N_125multi_tensor_apply_kernelINS1_18TensorListMetadataILi3EEENS1_20TernaryOpListFunctorIN3c107complexIfEELi3ELi3ELi0EEEJNS0_11LerpFunctorIS8_EEEEEvT_T0_DpT1_.num_agpr, 0
	.set _ZN2at6native12_GLOBAL__N_125multi_tensor_apply_kernelINS1_18TensorListMetadataILi3EEENS1_20TernaryOpListFunctorIN3c107complexIfEELi3ELi3ELi0EEEJNS0_11LerpFunctorIS8_EEEEEvT_T0_DpT1_.numbered_sgpr, 27
	.set _ZN2at6native12_GLOBAL__N_125multi_tensor_apply_kernelINS1_18TensorListMetadataILi3EEENS1_20TernaryOpListFunctorIN3c107complexIfEELi3ELi3ELi0EEEJNS0_11LerpFunctorIS8_EEEEEvT_T0_DpT1_.num_named_barrier, 0
	.set _ZN2at6native12_GLOBAL__N_125multi_tensor_apply_kernelINS1_18TensorListMetadataILi3EEENS1_20TernaryOpListFunctorIN3c107complexIfEELi3ELi3ELi0EEEJNS0_11LerpFunctorIS8_EEEEEvT_T0_DpT1_.private_seg_size, 0
	.set _ZN2at6native12_GLOBAL__N_125multi_tensor_apply_kernelINS1_18TensorListMetadataILi3EEENS1_20TernaryOpListFunctorIN3c107complexIfEELi3ELi3ELi0EEEJNS0_11LerpFunctorIS8_EEEEEvT_T0_DpT1_.uses_vcc, 1
	.set _ZN2at6native12_GLOBAL__N_125multi_tensor_apply_kernelINS1_18TensorListMetadataILi3EEENS1_20TernaryOpListFunctorIN3c107complexIfEELi3ELi3ELi0EEEJNS0_11LerpFunctorIS8_EEEEEvT_T0_DpT1_.uses_flat_scratch, 0
	.set _ZN2at6native12_GLOBAL__N_125multi_tensor_apply_kernelINS1_18TensorListMetadataILi3EEENS1_20TernaryOpListFunctorIN3c107complexIfEELi3ELi3ELi0EEEJNS0_11LerpFunctorIS8_EEEEEvT_T0_DpT1_.has_dyn_sized_stack, 0
	.set _ZN2at6native12_GLOBAL__N_125multi_tensor_apply_kernelINS1_18TensorListMetadataILi3EEENS1_20TernaryOpListFunctorIN3c107complexIfEELi3ELi3ELi0EEEJNS0_11LerpFunctorIS8_EEEEEvT_T0_DpT1_.has_recursion, 0
	.set _ZN2at6native12_GLOBAL__N_125multi_tensor_apply_kernelINS1_18TensorListMetadataILi3EEENS1_20TernaryOpListFunctorIN3c107complexIfEELi3ELi3ELi0EEEJNS0_11LerpFunctorIS8_EEEEEvT_T0_DpT1_.has_indirect_call, 0
	.section	.AMDGPU.csdata,"",@progbits
; Kernel info:
; codeLenInByte = 2432
; TotalNumSgprs: 31
; NumVgprs: 37
; ScratchSize: 0
; MemoryBound: 1
; FloatMode: 240
; IeeeMode: 1
; LDSByteSize: 0 bytes/workgroup (compile time only)
; SGPRBlocks: 3
; VGPRBlocks: 9
; NumSGPRsForWavesPerEU: 31
; NumVGPRsForWavesPerEU: 37
; Occupancy: 6
; WaveLimiterHint : 0
; COMPUTE_PGM_RSRC2:SCRATCH_EN: 0
; COMPUTE_PGM_RSRC2:USER_SGPR: 6
; COMPUTE_PGM_RSRC2:TRAP_HANDLER: 0
; COMPUTE_PGM_RSRC2:TGID_X_EN: 1
; COMPUTE_PGM_RSRC2:TGID_Y_EN: 0
; COMPUTE_PGM_RSRC2:TGID_Z_EN: 0
; COMPUTE_PGM_RSRC2:TIDIG_COMP_CNT: 0
	.section	.text._ZN2at6native12_GLOBAL__N_125multi_tensor_apply_kernelINS1_18TensorListMetadataILi3EEENS1_20TernaryOpListFunctorIN3c104HalfELi3ELi3ELi0EEEJNS0_11LerpFunctorIfEEEEEvT_T0_DpT1_,"axG",@progbits,_ZN2at6native12_GLOBAL__N_125multi_tensor_apply_kernelINS1_18TensorListMetadataILi3EEENS1_20TernaryOpListFunctorIN3c104HalfELi3ELi3ELi0EEEJNS0_11LerpFunctorIfEEEEEvT_T0_DpT1_,comdat
	.globl	_ZN2at6native12_GLOBAL__N_125multi_tensor_apply_kernelINS1_18TensorListMetadataILi3EEENS1_20TernaryOpListFunctorIN3c104HalfELi3ELi3ELi0EEEJNS0_11LerpFunctorIfEEEEEvT_T0_DpT1_ ; -- Begin function _ZN2at6native12_GLOBAL__N_125multi_tensor_apply_kernelINS1_18TensorListMetadataILi3EEENS1_20TernaryOpListFunctorIN3c104HalfELi3ELi3ELi0EEEJNS0_11LerpFunctorIfEEEEEvT_T0_DpT1_
	.p2align	8
	.type	_ZN2at6native12_GLOBAL__N_125multi_tensor_apply_kernelINS1_18TensorListMetadataILi3EEENS1_20TernaryOpListFunctorIN3c104HalfELi3ELi3ELi0EEEJNS0_11LerpFunctorIfEEEEEvT_T0_DpT1_,@function
_ZN2at6native12_GLOBAL__N_125multi_tensor_apply_kernelINS1_18TensorListMetadataILi3EEENS1_20TernaryOpListFunctorIN3c104HalfELi3ELi3ELi0EEEJNS0_11LerpFunctorIfEEEEEvT_T0_DpT1_: ; @_ZN2at6native12_GLOBAL__N_125multi_tensor_apply_kernelINS1_18TensorListMetadataILi3EEENS1_20TernaryOpListFunctorIN3c104HalfELi3ELi3ELi0EEEJNS0_11LerpFunctorIfEEEEEvT_T0_DpT1_
; %bb.0:
	v_mov_b32_e32 v1, s6
	global_load_ubyte v1, v1, s[4:5] offset:1536
	s_add_u32 s0, s4, s6
	s_mul_hi_u32 s2, s6, 3
	s_mul_i32 s6, s6, 3
	s_addc_u32 s7, s5, 0
	s_add_u32 s6, s0, s6
	s_addc_u32 s7, s7, s2
	s_load_dword s6, s[6:7], 0x740
	s_mov_b32 s1, 0
	s_mov_b32 s3, s1
	s_waitcnt lgkmcnt(0)
	s_ashr_i32 s7, s6, 31
	s_lshl_b64 s[8:9], s[6:7], 17
	s_waitcnt vmcnt(0)
	v_readfirstlane_b32 s0, v1
	s_lshl_b32 s0, s0, 3
	s_load_dwordx2 s[10:11], s[4:5], s0 offset:0x480
	s_load_dwordx2 s[18:19], s[4:5], s0 offset:0x0
	;; [unrolled: 1-line block ×4, first 2 shown]
	s_waitcnt lgkmcnt(0)
	s_and_b32 s0, s18, 7
	s_add_u32 s2, s16, s8
	s_or_b32 s2, s14, s2
	s_and_b32 s2, s2, 7
	s_cmp_lg_u32 s2, 0
	s_cselect_b64 s[20:21], -1, 0
	s_lshl_b64 s[6:7], s[6:7], 16
	s_sub_u32 s12, s10, s6
	s_subb_u32 s13, s11, s7
	s_and_b32 s2, s10, 3
	s_or_b64 s[0:1], s[0:1], s[2:3]
	s_cmp_lg_u64 s[0:1], 0
	s_cselect_b64 s[0:1], -1, 0
	s_or_b64 s[0:1], s[20:21], s[0:1]
	s_andn2_b64 vcc, exec, s[0:1]
	s_mov_b64 s[0:1], -1
	s_cbranch_vccz .LBB10_5
; %bb.1:
	v_mov_b32_e32 v1, 0x10000
	v_mov_b32_e32 v2, 0
	v_cmp_lt_i64_e32 vcc, s[12:13], v[1:2]
	v_mov_b32_e32 v2, 0
	s_and_b64 s[0:1], vcc, exec
	s_cselect_b32 s11, s13, 0
	s_cselect_b32 s10, s12, 0x10000
	v_lshlrev_b32_e32 v1, 2, v0
	v_cmp_gt_i64_e32 vcc, s[10:11], v[1:2]
	s_and_saveexec_b64 s[20:21], vcc
	s_cbranch_execz .LBB10_4
; %bb.2:
	s_load_dword s0, s[4:5], 0xc5c
	v_mov_b32_e32 v1, v2
	v_lshlrev_b32_e32 v2, 3, v0
	v_mov_b32_e32 v4, s9
	v_add_co_u32_e32 v3, vcc, s8, v2
	s_waitcnt lgkmcnt(0)
	s_and_b32 s24, s0, 0xffff
	s_lshl_b32 s25, s24, 3
	s_add_u32 s26, s18, 4
	s_addc_u32 s0, s19, 0
	s_add_u32 s27, s16, 4
	s_addc_u32 s1, s17, 0
	v_mov_b32_e32 v2, v1
	v_addc_co_u32_e32 v4, vcc, 0, v4, vcc
	s_mov_b64 s[22:23], 0
	v_mov_b32_e32 v5, s0
	v_mov_b32_e32 v6, s1
	;; [unrolled: 1-line block ×4, first 2 shown]
.LBB10_3:                               ; =>This Inner Loop Header: Depth=1
	v_add_co_u32_e32 v8, vcc, s26, v3
	v_addc_co_u32_e32 v9, vcc, v5, v4, vcc
	v_add_co_u32_e32 v10, vcc, s27, v3
	v_addc_co_u32_e32 v11, vcc, v6, v4, vcc
	;; [unrolled: 2-line block ×3, first 2 shown]
	global_load_dwordx2 v[14:15], v[8:9], off offset:-4
	global_load_dwordx2 v[16:17], v[10:11], off offset:-4
	global_load_dwordx2 v[18:19], v[12:13], off
	v_add_co_u32_e32 v1, vcc, s24, v1
	v_addc_co_u32_e32 v2, vcc, 0, v2, vcc
	v_add_co_u32_e32 v3, vcc, s25, v3
	v_addc_co_u32_e32 v4, vcc, 0, v4, vcc
	v_lshlrev_b64 v[10:11], 2, v[1:2]
	s_waitcnt vmcnt(2)
	v_cvt_f32_f16_e32 v12, v14
	v_cvt_f32_f16_sdwa v13, v14 dst_sel:DWORD dst_unused:UNUSED_PAD src0_sel:WORD_1
	s_waitcnt vmcnt(1)
	v_cvt_f32_f16_e32 v20, v16
	v_cvt_f32_f16_sdwa v21, v16 dst_sel:DWORD dst_unused:UNUSED_PAD src0_sel:WORD_1
	s_waitcnt vmcnt(0)
	v_cvt_f32_f16_sdwa v22, v18 dst_sel:DWORD dst_unused:UNUSED_PAD src0_sel:WORD_1
	v_cvt_f32_f16_e32 v23, v18
	v_cvt_f32_f16_e32 v24, v15
	v_cvt_f32_f16_sdwa v25, v15 dst_sel:DWORD dst_unused:UNUSED_PAD src0_sel:WORD_1
	v_cvt_f32_f16_e32 v26, v17
	v_cvt_f32_f16_sdwa v27, v17 dst_sel:DWORD dst_unused:UNUSED_PAD src0_sel:WORD_1
	v_cvt_f32_f16_sdwa v28, v19 dst_sel:DWORD dst_unused:UNUSED_PAD src0_sel:WORD_1
	v_cvt_f32_f16_e32 v29, v19
	v_sub_f32_e32 v13, v21, v13
	v_sub_f32_e32 v12, v20, v12
	v_sub_f32_e32 v20, 1.0, v22
	v_sub_f32_e32 v21, v27, v25
	v_sub_f32_e32 v25, 1.0, v23
	;; [unrolled: 2-line block ×3, first 2 shown]
	v_sub_f32_e32 v27, 1.0, v29
	v_fma_mix_f32 v25, -v12, v25, v16 op_sel_hi:[0,0,1]
	v_fma_mix_f32 v12, v12, v18, v14 op_sel_hi:[0,1,1]
	v_cmp_lt_f32_e64 vcc, |v23|, 0.5
	v_fma_mix_f32 v16, -v13, v20, v16 op_sel:[0,0,1] op_sel_hi:[0,0,1]
	v_fma_mix_f32 v13, v13, v18, v14 op_sel:[0,1,1] op_sel_hi:[0,1,1]
	v_fma_mix_f32 v14, -v24, v27, v17 op_sel_hi:[0,0,1]
	v_fma_mix_f32 v18, v24, v19, v15 op_sel_hi:[0,1,1]
	v_cmp_lt_f32_e64 s[0:1], |v29|, 0.5
	v_fma_mix_f32 v15, v21, v19, v15 op_sel:[0,1,1] op_sel_hi:[0,1,1]
	v_fma_mix_f32 v17, -v21, v26, v17 op_sel:[0,0,1] op_sel_hi:[0,0,1]
	v_cmp_lt_f32_e64 s[2:3], |v28|, 0.5
	v_cmp_lt_f32_e64 s[6:7], |v22|, 0.5
	v_cndmask_b32_e64 v13, v16, v13, s[6:7]
	v_cndmask_b32_e32 v12, v25, v12, vcc
	v_cndmask_b32_e64 v15, v17, v15, s[2:3]
	v_cndmask_b32_e64 v14, v14, v18, s[0:1]
	v_cvt_f16_f32_e32 v12, v12
	v_cvt_f16_f32_e32 v13, v13
	;; [unrolled: 1-line block ×4, first 2 shown]
	v_cmp_le_i64_e32 vcc, s[10:11], v[10:11]
	v_pack_b32_f16 v10, v12, v13
	s_or_b64 s[22:23], vcc, s[22:23]
	v_pack_b32_f16 v11, v14, v15
	global_store_dwordx2 v[8:9], v[10:11], off offset:-4
	s_andn2_b64 exec, exec, s[22:23]
	s_cbranch_execnz .LBB10_3
.LBB10_4:
	s_or_b64 exec, exec, s[20:21]
	s_mov_b64 s[0:1], 0
.LBB10_5:
	s_andn2_b64 vcc, exec, s[0:1]
	s_cbranch_vccnz .LBB10_33
; %bb.6:
	v_cmp_lt_i64_e64 s[0:1], s[12:13], 1
	s_and_b64 vcc, exec, s[0:1]
	s_cbranch_vccnz .LBB10_33
; %bb.7:
	v_mov_b32_e32 v1, 0x10000
	s_load_dword s2, s[4:5], 0xc5c
	v_mov_b32_e32 v2, 0
	v_cmp_lt_i64_e32 vcc, s[12:13], v[1:2]
	v_mov_b32_e32 v18, 0
	s_and_b64 s[0:1], vcc, exec
	s_cselect_b32 s11, s13, 0
	s_cselect_b32 s10, s12, 0x10000
	s_waitcnt lgkmcnt(0)
	s_and_b32 s2, s2, 0xffff
	v_lshlrev_b32_e32 v17, 1, v0
	v_mad_u64_u32 v[5:6], s[0:1], s2, 6, v[17:18]
	v_cmp_lt_u64_e32 vcc, s[12:13], v[1:2]
	v_mov_b32_e32 v2, s19
	s_and_b64 s[0:1], vcc, exec
	v_add_co_u32_e32 v1, vcc, s18, v5
	v_addc_co_u32_e32 v2, vcc, v2, v6, vcc
	v_mov_b32_e32 v4, s17
	v_add_co_u32_e32 v3, vcc, s16, v5
	v_addc_co_u32_e32 v4, vcc, v4, v6, vcc
	v_mov_b32_e32 v7, s15
	v_add_co_u32_e32 v5, vcc, s14, v5
	s_cselect_b32 s13, s13, 0
	s_cselect_b32 s12, s12, 0x10000
	s_lshl_b32 s20, s2, 2
	v_addc_co_u32_e32 v6, vcc, v7, v6, vcc
	v_add_co_u32_e32 v11, vcc, s20, v17
	v_addc_co_u32_e64 v12, s[0:1], 0, 0, vcc
	v_mov_b32_e32 v8, s19
	v_add_co_u32_e32 v7, vcc, s18, v11
	v_addc_co_u32_e32 v8, vcc, v8, v12, vcc
	v_mov_b32_e32 v10, s17
	v_add_co_u32_e32 v9, vcc, s16, v11
	v_addc_co_u32_e32 v10, vcc, v10, v12, vcc
	;; [unrolled: 3-line block ×6, first 2 shown]
	v_add_co_u32_e32 v19, vcc, s2, v0
	v_lshlrev_b32_e32 v25, 1, v19
	v_addc_co_u32_e64 v20, s[0:1], 0, 0, vcc
	v_mov_b32_e32 v22, s19
	v_add_co_u32_e32 v21, vcc, s18, v25
	v_addc_co_u32_e32 v22, vcc, 0, v22, vcc
	v_mov_b32_e32 v24, s17
	v_add_co_u32_e32 v23, vcc, s16, v25
	v_addc_co_u32_e32 v24, vcc, 0, v24, vcc
	v_mov_b32_e32 v26, s15
	v_add_co_u32_e32 v25, vcc, s14, v25
	s_mul_i32 s4, s2, 3
	v_addc_co_u32_e32 v26, vcc, 0, v26, vcc
	s_lshl_b32 s3, s2, 1
	v_add_co_u32_e32 v27, vcc, s4, v0
	v_addc_co_u32_e64 v28, s[0:1], 0, 0, vcc
	v_add_co_u32_e32 v29, vcc, s3, v0
	s_lshl_b32 s21, s2, 3
	s_mov_b64 s[14:15], 0
	v_addc_co_u32_e64 v30, s[0:1], 0, 0, vcc
	s_branch .LBB10_9
.LBB10_8:                               ;   in Loop: Header=BB10_9 Depth=1
	s_or_b64 exec, exec, s[0:1]
	v_add_co_u32_e32 v13, vcc, s21, v13
	v_addc_co_u32_e32 v14, vcc, 0, v14, vcc
	v_add_co_u32_e32 v15, vcc, s21, v15
	v_addc_co_u32_e32 v16, vcc, 0, v16, vcc
	;; [unrolled: 2-line block ×10, first 2 shown]
	s_add_u32 s14, s14, s20
	v_add_co_u32_e32 v23, vcc, s21, v23
	v_mov_b32_e32 v32, s11
	s_addc_u32 s15, s15, 0
	v_addc_co_u32_e32 v24, vcc, 0, v24, vcc
	v_mov_b32_e32 v31, s10
	v_cmp_ge_i64_e32 vcc, s[14:15], v[31:32]
	v_add_co_u32_e64 v25, s[0:1], s21, v25
	v_addc_co_u32_e64 v26, s[0:1], 0, v26, s[0:1]
	s_cbranch_vccnz .LBB10_33
.LBB10_9:                               ; =>This Inner Loop Header: Depth=1
	v_mov_b32_e32 v32, s15
	v_add_co_u32_e32 v31, vcc, s14, v0
	v_addc_co_u32_e32 v32, vcc, 0, v32, vcc
	v_cmp_gt_u64_e32 vcc, s[12:13], v[31:32]
	v_mov_b32_e32 v32, 0
	v_mov_b32_e32 v31, 0
	s_and_saveexec_b64 s[2:3], vcc
	s_cbranch_execz .LBB10_11
; %bb.10:                               ;   in Loop: Header=BB10_9 Depth=1
	v_mov_b32_e32 v34, s9
	v_add_co_u32_e64 v31, s[0:1], s8, v15
	v_addc_co_u32_e64 v32, s[0:1], v16, v34, s[0:1]
	v_add_co_u32_e64 v33, s[0:1], s8, v13
	v_addc_co_u32_e64 v34, s[0:1], v14, v34, s[0:1]
	global_load_ushort v35, v[33:34], off
	global_load_ushort v36, v[31:32], off
	s_waitcnt vmcnt(1)
	v_cvt_f32_f16_e32 v31, v35
	s_waitcnt vmcnt(0)
	v_cvt_f32_f16_e32 v32, v36
.LBB10_11:                              ;   in Loop: Header=BB10_9 Depth=1
	s_or_b64 exec, exec, s[2:3]
	v_mov_b32_e32 v33, 0
	v_mov_b32_e32 v34, 0
	s_and_saveexec_b64 s[2:3], vcc
	s_cbranch_execz .LBB10_13
; %bb.12:                               ;   in Loop: Header=BB10_9 Depth=1
	v_mov_b32_e32 v35, s9
	v_add_co_u32_e64 v34, s[0:1], s8, v17
	v_addc_co_u32_e64 v35, s[0:1], v18, v35, s[0:1]
	global_load_ushort v34, v[34:35], off
	s_waitcnt vmcnt(0)
	v_cvt_f32_f16_e32 v34, v34
.LBB10_13:                              ;   in Loop: Header=BB10_9 Depth=1
	s_or_b64 exec, exec, s[2:3]
	v_mov_b32_e32 v36, s15
	v_add_co_u32_e64 v35, s[0:1], s14, v19
	v_addc_co_u32_e64 v36, s[0:1], v20, v36, s[0:1]
	v_cmp_gt_u64_e64 s[0:1], s[12:13], v[35:36]
	v_mov_b32_e32 v35, 0
	s_and_saveexec_b64 s[4:5], s[0:1]
	s_cbranch_execz .LBB10_15
; %bb.14:                               ;   in Loop: Header=BB10_9 Depth=1
	v_mov_b32_e32 v33, s9
	v_add_co_u32_e64 v35, s[2:3], s8, v23
	v_addc_co_u32_e64 v36, s[2:3], v24, v33, s[2:3]
	v_add_co_u32_e64 v37, s[2:3], s8, v21
	v_addc_co_u32_e64 v38, s[2:3], v22, v33, s[2:3]
	global_load_ushort v33, v[37:38], off
	global_load_ushort v39, v[35:36], off
	s_waitcnt vmcnt(1)
	v_cvt_f32_f16_e32 v35, v33
	s_waitcnt vmcnt(0)
	v_cvt_f32_f16_e32 v33, v39
.LBB10_15:                              ;   in Loop: Header=BB10_9 Depth=1
	s_or_b64 exec, exec, s[4:5]
	v_mov_b32_e32 v36, 0
	v_mov_b32_e32 v37, 0
	s_and_saveexec_b64 s[4:5], s[0:1]
	s_cbranch_execz .LBB10_17
; %bb.16:                               ;   in Loop: Header=BB10_9 Depth=1
	v_mov_b32_e32 v38, s9
	v_add_co_u32_e64 v37, s[2:3], s8, v25
	v_addc_co_u32_e64 v38, s[2:3], v26, v38, s[2:3]
	global_load_ushort v37, v[37:38], off
	s_waitcnt vmcnt(0)
	v_cvt_f32_f16_e32 v37, v37
.LBB10_17:                              ;   in Loop: Header=BB10_9 Depth=1
	s_or_b64 exec, exec, s[4:5]
	v_mov_b32_e32 v39, s15
	v_add_co_u32_e64 v38, s[2:3], s14, v29
	v_addc_co_u32_e64 v39, s[2:3], v30, v39, s[2:3]
	v_cmp_gt_u64_e64 s[2:3], s[12:13], v[38:39]
	v_mov_b32_e32 v38, 0
	s_and_saveexec_b64 s[6:7], s[2:3]
	s_cbranch_execz .LBB10_19
; %bb.18:                               ;   in Loop: Header=BB10_9 Depth=1
	v_mov_b32_e32 v36, s9
	v_add_co_u32_e64 v38, s[4:5], s8, v9
	v_addc_co_u32_e64 v39, s[4:5], v10, v36, s[4:5]
	v_add_co_u32_e64 v40, s[4:5], s8, v7
	v_addc_co_u32_e64 v41, s[4:5], v8, v36, s[4:5]
	global_load_ushort v36, v[40:41], off
	global_load_ushort v42, v[38:39], off
	s_waitcnt vmcnt(1)
	v_cvt_f32_f16_e32 v38, v36
	s_waitcnt vmcnt(0)
	v_cvt_f32_f16_e32 v36, v42
.LBB10_19:                              ;   in Loop: Header=BB10_9 Depth=1
	s_or_b64 exec, exec, s[6:7]
	v_mov_b32_e32 v39, 0
	v_mov_b32_e32 v40, 0
	s_and_saveexec_b64 s[6:7], s[2:3]
	s_cbranch_execz .LBB10_21
; %bb.20:                               ;   in Loop: Header=BB10_9 Depth=1
	v_mov_b32_e32 v41, s9
	v_add_co_u32_e64 v40, s[4:5], s8, v11
	v_addc_co_u32_e64 v41, s[4:5], v12, v41, s[4:5]
	global_load_ushort v40, v[40:41], off
	s_waitcnt vmcnt(0)
	v_cvt_f32_f16_e32 v40, v40
.LBB10_21:                              ;   in Loop: Header=BB10_9 Depth=1
	s_or_b64 exec, exec, s[6:7]
	v_mov_b32_e32 v42, s15
	v_add_co_u32_e64 v41, s[4:5], s14, v27
	v_addc_co_u32_e64 v42, s[4:5], v28, v42, s[4:5]
	v_cmp_gt_u64_e64 s[4:5], s[12:13], v[41:42]
	v_mov_b32_e32 v41, 0
	s_and_saveexec_b64 s[16:17], s[4:5]
	s_cbranch_execnz .LBB10_27
; %bb.22:                               ;   in Loop: Header=BB10_9 Depth=1
	s_or_b64 exec, exec, s[16:17]
	v_mov_b32_e32 v42, 0
	s_and_saveexec_b64 s[16:17], s[4:5]
	s_cbranch_execnz .LBB10_28
.LBB10_23:                              ;   in Loop: Header=BB10_9 Depth=1
	s_or_b64 exec, exec, s[16:17]
	s_and_saveexec_b64 s[6:7], vcc
	s_cbranch_execnz .LBB10_29
.LBB10_24:                              ;   in Loop: Header=BB10_9 Depth=1
	s_or_b64 exec, exec, s[6:7]
	s_and_saveexec_b64 s[6:7], s[0:1]
	s_cbranch_execnz .LBB10_30
.LBB10_25:                              ;   in Loop: Header=BB10_9 Depth=1
	s_or_b64 exec, exec, s[6:7]
	s_and_saveexec_b64 s[0:1], s[2:3]
	s_cbranch_execnz .LBB10_31
.LBB10_26:                              ;   in Loop: Header=BB10_9 Depth=1
	s_or_b64 exec, exec, s[0:1]
	s_and_saveexec_b64 s[0:1], s[4:5]
	s_cbranch_execz .LBB10_8
	s_branch .LBB10_32
.LBB10_27:                              ;   in Loop: Header=BB10_9 Depth=1
	v_mov_b32_e32 v39, s9
	v_add_co_u32_e64 v41, s[6:7], s8, v3
	v_addc_co_u32_e64 v42, s[6:7], v4, v39, s[6:7]
	v_add_co_u32_e64 v43, s[6:7], s8, v1
	v_addc_co_u32_e64 v44, s[6:7], v2, v39, s[6:7]
	global_load_ushort v39, v[43:44], off
	global_load_ushort v45, v[41:42], off
	s_waitcnt vmcnt(1)
	v_cvt_f32_f16_e32 v41, v39
	s_waitcnt vmcnt(0)
	v_cvt_f32_f16_e32 v39, v45
	s_or_b64 exec, exec, s[16:17]
	v_mov_b32_e32 v42, 0
	s_and_saveexec_b64 s[16:17], s[4:5]
	s_cbranch_execz .LBB10_23
.LBB10_28:                              ;   in Loop: Header=BB10_9 Depth=1
	v_mov_b32_e32 v43, s9
	v_add_co_u32_e64 v42, s[6:7], s8, v5
	v_addc_co_u32_e64 v43, s[6:7], v6, v43, s[6:7]
	global_load_ushort v42, v[42:43], off
	s_waitcnt vmcnt(0)
	v_cvt_f32_f16_e32 v42, v42
	s_or_b64 exec, exec, s[16:17]
	s_and_saveexec_b64 s[6:7], vcc
	s_cbranch_execz .LBB10_24
.LBB10_29:                              ;   in Loop: Header=BB10_9 Depth=1
	v_sub_f32_e32 v43, v32, v31
	v_sub_f32_e32 v44, 1.0, v34
	v_fmac_f32_e32 v31, v43, v34
	v_fma_f32 v32, -v43, v44, v32
	v_cmp_lt_f32_e64 vcc, |v34|, 0.5
	v_cndmask_b32_e32 v31, v32, v31, vcc
	v_cvt_f16_f32_e32 v34, v31
	v_mov_b32_e32 v32, s9
	v_add_co_u32_e32 v31, vcc, s8, v13
	v_addc_co_u32_e32 v32, vcc, v14, v32, vcc
	global_store_short v[31:32], v34, off
	s_or_b64 exec, exec, s[6:7]
	s_and_saveexec_b64 s[6:7], s[0:1]
	s_cbranch_execz .LBB10_25
.LBB10_30:                              ;   in Loop: Header=BB10_9 Depth=1
	v_sub_f32_e32 v31, v33, v35
	v_sub_f32_e32 v32, 1.0, v37
	v_fmac_f32_e32 v35, v31, v37
	v_fma_f32 v31, -v31, v32, v33
	v_cmp_lt_f32_e64 vcc, |v37|, 0.5
	v_cndmask_b32_e32 v31, v31, v35, vcc
	v_cvt_f16_f32_e32 v33, v31
	v_mov_b32_e32 v32, s9
	v_add_co_u32_e32 v31, vcc, s8, v21
	v_addc_co_u32_e32 v32, vcc, v22, v32, vcc
	global_store_short v[31:32], v33, off
	s_or_b64 exec, exec, s[6:7]
	s_and_saveexec_b64 s[0:1], s[2:3]
	s_cbranch_execz .LBB10_26
.LBB10_31:                              ;   in Loop: Header=BB10_9 Depth=1
	v_sub_f32_e32 v31, v36, v38
	v_sub_f32_e32 v32, 1.0, v40
	v_fmac_f32_e32 v38, v31, v40
	v_fma_f32 v31, -v31, v32, v36
	v_cmp_lt_f32_e64 vcc, |v40|, 0.5
	v_cndmask_b32_e32 v31, v31, v38, vcc
	v_cvt_f16_f32_e32 v33, v31
	v_mov_b32_e32 v32, s9
	v_add_co_u32_e32 v31, vcc, s8, v7
	v_addc_co_u32_e32 v32, vcc, v8, v32, vcc
	global_store_short v[31:32], v33, off
	s_or_b64 exec, exec, s[0:1]
	s_and_saveexec_b64 s[0:1], s[4:5]
	s_cbranch_execz .LBB10_8
.LBB10_32:                              ;   in Loop: Header=BB10_9 Depth=1
	v_sub_f32_e32 v31, v39, v41
	v_sub_f32_e32 v32, 1.0, v42
	v_fmac_f32_e32 v41, v31, v42
	v_fma_f32 v31, -v31, v32, v39
	v_cmp_lt_f32_e64 vcc, |v42|, 0.5
	v_cndmask_b32_e32 v31, v31, v41, vcc
	v_cvt_f16_f32_e32 v33, v31
	v_mov_b32_e32 v32, s9
	v_add_co_u32_e32 v31, vcc, s8, v1
	v_addc_co_u32_e32 v32, vcc, v2, v32, vcc
	global_store_short v[31:32], v33, off
	s_branch .LBB10_8
.LBB10_33:
	s_endpgm
	.section	.rodata,"a",@progbits
	.p2align	6, 0x0
	.amdhsa_kernel _ZN2at6native12_GLOBAL__N_125multi_tensor_apply_kernelINS1_18TensorListMetadataILi3EEENS1_20TernaryOpListFunctorIN3c104HalfELi3ELi3ELi0EEEJNS0_11LerpFunctorIfEEEEEvT_T0_DpT1_
		.amdhsa_group_segment_fixed_size 0
		.amdhsa_private_segment_fixed_size 0
		.amdhsa_kernarg_size 3408
		.amdhsa_user_sgpr_count 6
		.amdhsa_user_sgpr_private_segment_buffer 1
		.amdhsa_user_sgpr_dispatch_ptr 0
		.amdhsa_user_sgpr_queue_ptr 0
		.amdhsa_user_sgpr_kernarg_segment_ptr 1
		.amdhsa_user_sgpr_dispatch_id 0
		.amdhsa_user_sgpr_flat_scratch_init 0
		.amdhsa_user_sgpr_private_segment_size 0
		.amdhsa_uses_dynamic_stack 0
		.amdhsa_system_sgpr_private_segment_wavefront_offset 0
		.amdhsa_system_sgpr_workgroup_id_x 1
		.amdhsa_system_sgpr_workgroup_id_y 0
		.amdhsa_system_sgpr_workgroup_id_z 0
		.amdhsa_system_sgpr_workgroup_info 0
		.amdhsa_system_vgpr_workitem_id 0
		.amdhsa_next_free_vgpr 46
		.amdhsa_next_free_sgpr 28
		.amdhsa_reserve_vcc 1
		.amdhsa_reserve_flat_scratch 0
		.amdhsa_float_round_mode_32 0
		.amdhsa_float_round_mode_16_64 0
		.amdhsa_float_denorm_mode_32 3
		.amdhsa_float_denorm_mode_16_64 3
		.amdhsa_dx10_clamp 1
		.amdhsa_ieee_mode 1
		.amdhsa_fp16_overflow 0
		.amdhsa_exception_fp_ieee_invalid_op 0
		.amdhsa_exception_fp_denorm_src 0
		.amdhsa_exception_fp_ieee_div_zero 0
		.amdhsa_exception_fp_ieee_overflow 0
		.amdhsa_exception_fp_ieee_underflow 0
		.amdhsa_exception_fp_ieee_inexact 0
		.amdhsa_exception_int_div_zero 0
	.end_amdhsa_kernel
	.section	.text._ZN2at6native12_GLOBAL__N_125multi_tensor_apply_kernelINS1_18TensorListMetadataILi3EEENS1_20TernaryOpListFunctorIN3c104HalfELi3ELi3ELi0EEEJNS0_11LerpFunctorIfEEEEEvT_T0_DpT1_,"axG",@progbits,_ZN2at6native12_GLOBAL__N_125multi_tensor_apply_kernelINS1_18TensorListMetadataILi3EEENS1_20TernaryOpListFunctorIN3c104HalfELi3ELi3ELi0EEEJNS0_11LerpFunctorIfEEEEEvT_T0_DpT1_,comdat
.Lfunc_end10:
	.size	_ZN2at6native12_GLOBAL__N_125multi_tensor_apply_kernelINS1_18TensorListMetadataILi3EEENS1_20TernaryOpListFunctorIN3c104HalfELi3ELi3ELi0EEEJNS0_11LerpFunctorIfEEEEEvT_T0_DpT1_, .Lfunc_end10-_ZN2at6native12_GLOBAL__N_125multi_tensor_apply_kernelINS1_18TensorListMetadataILi3EEENS1_20TernaryOpListFunctorIN3c104HalfELi3ELi3ELi0EEEJNS0_11LerpFunctorIfEEEEEvT_T0_DpT1_
                                        ; -- End function
	.set _ZN2at6native12_GLOBAL__N_125multi_tensor_apply_kernelINS1_18TensorListMetadataILi3EEENS1_20TernaryOpListFunctorIN3c104HalfELi3ELi3ELi0EEEJNS0_11LerpFunctorIfEEEEEvT_T0_DpT1_.num_vgpr, 46
	.set _ZN2at6native12_GLOBAL__N_125multi_tensor_apply_kernelINS1_18TensorListMetadataILi3EEENS1_20TernaryOpListFunctorIN3c104HalfELi3ELi3ELi0EEEJNS0_11LerpFunctorIfEEEEEvT_T0_DpT1_.num_agpr, 0
	.set _ZN2at6native12_GLOBAL__N_125multi_tensor_apply_kernelINS1_18TensorListMetadataILi3EEENS1_20TernaryOpListFunctorIN3c104HalfELi3ELi3ELi0EEEJNS0_11LerpFunctorIfEEEEEvT_T0_DpT1_.numbered_sgpr, 28
	.set _ZN2at6native12_GLOBAL__N_125multi_tensor_apply_kernelINS1_18TensorListMetadataILi3EEENS1_20TernaryOpListFunctorIN3c104HalfELi3ELi3ELi0EEEJNS0_11LerpFunctorIfEEEEEvT_T0_DpT1_.num_named_barrier, 0
	.set _ZN2at6native12_GLOBAL__N_125multi_tensor_apply_kernelINS1_18TensorListMetadataILi3EEENS1_20TernaryOpListFunctorIN3c104HalfELi3ELi3ELi0EEEJNS0_11LerpFunctorIfEEEEEvT_T0_DpT1_.private_seg_size, 0
	.set _ZN2at6native12_GLOBAL__N_125multi_tensor_apply_kernelINS1_18TensorListMetadataILi3EEENS1_20TernaryOpListFunctorIN3c104HalfELi3ELi3ELi0EEEJNS0_11LerpFunctorIfEEEEEvT_T0_DpT1_.uses_vcc, 1
	.set _ZN2at6native12_GLOBAL__N_125multi_tensor_apply_kernelINS1_18TensorListMetadataILi3EEENS1_20TernaryOpListFunctorIN3c104HalfELi3ELi3ELi0EEEJNS0_11LerpFunctorIfEEEEEvT_T0_DpT1_.uses_flat_scratch, 0
	.set _ZN2at6native12_GLOBAL__N_125multi_tensor_apply_kernelINS1_18TensorListMetadataILi3EEENS1_20TernaryOpListFunctorIN3c104HalfELi3ELi3ELi0EEEJNS0_11LerpFunctorIfEEEEEvT_T0_DpT1_.has_dyn_sized_stack, 0
	.set _ZN2at6native12_GLOBAL__N_125multi_tensor_apply_kernelINS1_18TensorListMetadataILi3EEENS1_20TernaryOpListFunctorIN3c104HalfELi3ELi3ELi0EEEJNS0_11LerpFunctorIfEEEEEvT_T0_DpT1_.has_recursion, 0
	.set _ZN2at6native12_GLOBAL__N_125multi_tensor_apply_kernelINS1_18TensorListMetadataILi3EEENS1_20TernaryOpListFunctorIN3c104HalfELi3ELi3ELi0EEEJNS0_11LerpFunctorIfEEEEEvT_T0_DpT1_.has_indirect_call, 0
	.section	.AMDGPU.csdata,"",@progbits
; Kernel info:
; codeLenInByte = 2160
; TotalNumSgprs: 32
; NumVgprs: 46
; ScratchSize: 0
; MemoryBound: 0
; FloatMode: 240
; IeeeMode: 1
; LDSByteSize: 0 bytes/workgroup (compile time only)
; SGPRBlocks: 3
; VGPRBlocks: 11
; NumSGPRsForWavesPerEU: 32
; NumVGPRsForWavesPerEU: 46
; Occupancy: 5
; WaveLimiterHint : 0
; COMPUTE_PGM_RSRC2:SCRATCH_EN: 0
; COMPUTE_PGM_RSRC2:USER_SGPR: 6
; COMPUTE_PGM_RSRC2:TRAP_HANDLER: 0
; COMPUTE_PGM_RSRC2:TGID_X_EN: 1
; COMPUTE_PGM_RSRC2:TGID_Y_EN: 0
; COMPUTE_PGM_RSRC2:TGID_Z_EN: 0
; COMPUTE_PGM_RSRC2:TIDIG_COMP_CNT: 0
	.section	.text._ZN2at6native12_GLOBAL__N_125multi_tensor_apply_kernelINS1_18TensorListMetadataILi3EEENS1_20TernaryOpListFunctorIN3c108BFloat16ELi3ELi3ELi0EEEJNS0_11LerpFunctorIfEEEEEvT_T0_DpT1_,"axG",@progbits,_ZN2at6native12_GLOBAL__N_125multi_tensor_apply_kernelINS1_18TensorListMetadataILi3EEENS1_20TernaryOpListFunctorIN3c108BFloat16ELi3ELi3ELi0EEEJNS0_11LerpFunctorIfEEEEEvT_T0_DpT1_,comdat
	.globl	_ZN2at6native12_GLOBAL__N_125multi_tensor_apply_kernelINS1_18TensorListMetadataILi3EEENS1_20TernaryOpListFunctorIN3c108BFloat16ELi3ELi3ELi0EEEJNS0_11LerpFunctorIfEEEEEvT_T0_DpT1_ ; -- Begin function _ZN2at6native12_GLOBAL__N_125multi_tensor_apply_kernelINS1_18TensorListMetadataILi3EEENS1_20TernaryOpListFunctorIN3c108BFloat16ELi3ELi3ELi0EEEJNS0_11LerpFunctorIfEEEEEvT_T0_DpT1_
	.p2align	8
	.type	_ZN2at6native12_GLOBAL__N_125multi_tensor_apply_kernelINS1_18TensorListMetadataILi3EEENS1_20TernaryOpListFunctorIN3c108BFloat16ELi3ELi3ELi0EEEJNS0_11LerpFunctorIfEEEEEvT_T0_DpT1_,@function
_ZN2at6native12_GLOBAL__N_125multi_tensor_apply_kernelINS1_18TensorListMetadataILi3EEENS1_20TernaryOpListFunctorIN3c108BFloat16ELi3ELi3ELi0EEEJNS0_11LerpFunctorIfEEEEEvT_T0_DpT1_: ; @_ZN2at6native12_GLOBAL__N_125multi_tensor_apply_kernelINS1_18TensorListMetadataILi3EEENS1_20TernaryOpListFunctorIN3c108BFloat16ELi3ELi3ELi0EEEJNS0_11LerpFunctorIfEEEEEvT_T0_DpT1_
; %bb.0:
	v_mov_b32_e32 v1, s6
	global_load_ubyte v1, v1, s[4:5] offset:1536
	s_add_u32 s0, s4, s6
	s_mul_hi_u32 s2, s6, 3
	s_mul_i32 s6, s6, 3
	s_addc_u32 s7, s5, 0
	s_add_u32 s6, s0, s6
	s_addc_u32 s7, s7, s2
	s_load_dword s10, s[6:7], 0x740
	s_mov_b32 s1, 0
	s_mov_b32 s3, s1
	s_waitcnt lgkmcnt(0)
	s_ashr_i32 s11, s10, 31
	s_lshl_b64 s[8:9], s[10:11], 17
	s_waitcnt vmcnt(0)
	v_readfirstlane_b32 s0, v1
	s_lshl_b32 s0, s0, 3
	s_load_dwordx2 s[18:19], s[4:5], s0 offset:0x480
	s_load_dwordx2 s[16:17], s[4:5], s0 offset:0x0
	;; [unrolled: 1-line block ×4, first 2 shown]
	s_waitcnt lgkmcnt(0)
	s_and_b32 s0, s16, 7
	s_add_u32 s2, s14, s8
	s_or_b32 s2, s6, s2
	s_and_b32 s2, s2, 7
	s_cmp_lg_u32 s2, 0
	s_cselect_b64 s[20:21], -1, 0
	s_lshl_b64 s[10:11], s[10:11], 16
	s_sub_u32 s12, s18, s10
	s_subb_u32 s13, s19, s11
	s_and_b32 s2, s18, 3
	s_or_b64 s[0:1], s[0:1], s[2:3]
	s_cmp_lg_u64 s[0:1], 0
	s_cselect_b64 s[0:1], -1, 0
	s_or_b64 s[0:1], s[20:21], s[0:1]
	s_andn2_b64 vcc, exec, s[0:1]
	s_mov_b64 s[0:1], -1
	s_cbranch_vccz .LBB11_5
; %bb.1:
	v_mov_b32_e32 v1, 0x10000
	v_mov_b32_e32 v2, 0
	v_cmp_lt_i64_e32 vcc, s[12:13], v[1:2]
	v_mov_b32_e32 v2, 0
	s_and_b64 s[0:1], vcc, exec
	s_cselect_b32 s11, s13, 0
	s_cselect_b32 s10, s12, 0x10000
	v_lshlrev_b32_e32 v1, 2, v0
	v_cmp_gt_i64_e32 vcc, s[10:11], v[1:2]
	s_and_saveexec_b64 s[18:19], vcc
	s_cbranch_execz .LBB11_4
; %bb.2:
	s_load_dword s0, s[4:5], 0xc5c
	v_mov_b32_e32 v1, v2
	v_lshlrev_b32_e32 v2, 3, v0
	v_mov_b32_e32 v4, s9
	v_add_co_u32_e32 v3, vcc, s8, v2
	s_waitcnt lgkmcnt(0)
	s_and_b32 s22, s0, 0xffff
	v_mov_b32_e32 v2, v1
	v_addc_co_u32_e32 v4, vcc, 0, v4, vcc
	s_lshl_b32 s23, s22, 3
	s_mov_b64 s[20:21], 0
	v_mov_b32_e32 v5, s17
	v_mov_b32_e32 v6, s15
	v_mov_b32_e32 v7, s7
	s_movk_i32 s24, 0x7fff
	v_mov_b32_e32 v8, 0x7fc0
	v_mov_b32_e32 v9, 0x7fc00000
	v_mov_b32_e32 v1, v0
.LBB11_3:                               ; =>This Inner Loop Header: Depth=1
	v_add_co_u32_e32 v10, vcc, s16, v3
	v_addc_co_u32_e32 v11, vcc, v5, v4, vcc
	v_add_co_u32_e32 v12, vcc, s14, v3
	v_addc_co_u32_e32 v13, vcc, v6, v4, vcc
	;; [unrolled: 2-line block ×3, first 2 shown]
	global_load_dwordx2 v[16:17], v[10:11], off
	global_load_dwordx2 v[18:19], v[12:13], off
	;; [unrolled: 1-line block ×3, first 2 shown]
	v_add_co_u32_e32 v1, vcc, s22, v1
	v_addc_co_u32_e32 v2, vcc, 0, v2, vcc
	v_add_co_u32_e32 v3, vcc, s23, v3
	v_lshlrev_b64 v[12:13], 2, v[1:2]
	v_addc_co_u32_e32 v4, vcc, 0, v4, vcc
	v_cmp_le_i64_e32 vcc, s[10:11], v[12:13]
	s_or_b64 s[20:21], vcc, s[20:21]
	s_waitcnt vmcnt(2)
	v_lshlrev_b32_e32 v12, 16, v16
	s_waitcnt vmcnt(1)
	v_lshlrev_b32_e32 v13, 16, v18
	;; [unrolled: 2-line block ×3, first 2 shown]
	v_and_b32_e32 v15, 0xffff0000, v16
	v_and_b32_e32 v22, 0xffff0000, v18
	v_and_b32_e32 v23, 0xffff0000, v20
	v_alignbit_b32 v16, v17, v16, 16
	v_alignbit_b32 v18, v19, v18, 16
	;; [unrolled: 1-line block ×3, first 2 shown]
	v_and_b32_e32 v17, 0xffff0000, v17
	v_and_b32_e32 v19, 0xffff0000, v19
	;; [unrolled: 1-line block ×3, first 2 shown]
	v_sub_f32_e32 v24, v13, v12
	v_sub_f32_e32 v25, 1.0, v14
	v_sub_f32_e32 v26, v22, v15
	v_sub_f32_e32 v27, 1.0, v23
	v_and_b32_e32 v16, 0xffff0000, v16
	v_and_b32_e32 v18, 0xffff0000, v18
	;; [unrolled: 1-line block ×3, first 2 shown]
	v_sub_f32_e32 v28, v19, v17
	v_sub_f32_e32 v29, 1.0, v21
	v_fma_f32 v13, -v24, v25, v13
	v_fmac_f32_e32 v12, v24, v14
	v_fmac_f32_e32 v15, v26, v23
	v_fma_f32 v22, -v26, v27, v22
	v_cmp_lt_f32_e64 vcc, |v23|, 0.5
	v_sub_f32_e32 v23, v18, v16
	v_sub_f32_e32 v24, 1.0, v20
	v_cmp_lt_f32_e64 s[2:3], |v14|, 0.5
	v_fmac_f32_e32 v17, v28, v21
	v_fma_f32 v19, -v28, v29, v19
	v_cmp_lt_f32_e64 s[0:1], |v21|, 0.5
	v_cndmask_b32_e64 v12, v13, v12, s[2:3]
	v_cndmask_b32_e32 v13, v22, v15, vcc
	v_fmac_f32_e32 v16, v23, v20
	v_fma_f32 v14, -v23, v24, v18
	v_cmp_lt_f32_e64 vcc, |v20|, 0.5
	v_cndmask_b32_e64 v15, v19, v17, s[0:1]
	v_bfe_u32 v17, v12, 16, 1
	v_bfe_u32 v18, v13, 16, 1
	v_cndmask_b32_e32 v14, v14, v16, vcc
	v_bfe_u32 v16, v15, 16, 1
	v_add3_u32 v17, v12, v17, s24
	v_add3_u32 v18, v13, v18, s24
	v_bfe_u32 v19, v14, 16, 1
	v_add3_u32 v16, v15, v16, s24
	v_lshrrev_b32_e32 v17, 16, v17
	v_and_b32_e32 v18, 0xffff0000, v18
	v_cmp_o_f32_e32 vcc, v13, v13
	v_add3_u32 v13, v14, v19, s24
	v_cmp_o_f32_e64 s[2:3], v12, v12
	v_and_b32_e32 v16, 0xffff0000, v16
	v_cmp_o_f32_e64 s[0:1], v15, v15
	v_cndmask_b32_e64 v12, v8, v17, s[2:3]
	v_cndmask_b32_e32 v15, v9, v18, vcc
	v_lshrrev_b32_e32 v13, 16, v13
	v_cmp_o_f32_e32 vcc, v14, v14
	v_cndmask_b32_e64 v14, v9, v16, s[0:1]
	v_or_b32_e32 v12, v12, v15
	v_cndmask_b32_e32 v13, v8, v13, vcc
	v_or3_b32 v13, 0, v13, v14
	v_or3_b32 v12, v12, 0, 0
	global_store_dwordx2 v[10:11], v[12:13], off
	s_andn2_b64 exec, exec, s[20:21]
	s_cbranch_execnz .LBB11_3
.LBB11_4:
	s_or_b64 exec, exec, s[18:19]
	s_mov_b64 s[0:1], 0
.LBB11_5:
	s_andn2_b64 vcc, exec, s[0:1]
	s_cbranch_vccnz .LBB11_33
; %bb.6:
	v_cmp_lt_i64_e64 s[0:1], s[12:13], 1
	s_and_b64 vcc, exec, s[0:1]
	s_cbranch_vccnz .LBB11_33
; %bb.7:
	v_mov_b32_e32 v1, 0x10000
	s_load_dword s2, s[4:5], 0xc5c
	v_mov_b32_e32 v2, 0
	v_cmp_lt_i64_e32 vcc, s[12:13], v[1:2]
	v_mov_b32_e32 v3, 0
	s_and_b64 s[0:1], vcc, exec
	s_cselect_b32 s11, s13, 0
	s_cselect_b32 s10, s12, 0x10000
	v_cmp_lt_u64_e32 vcc, s[12:13], v[1:2]
	s_waitcnt lgkmcnt(0)
	s_and_b32 s2, s2, 0xffff
	v_lshlrev_b32_e32 v2, 1, v0
	v_mad_u64_u32 v[3:4], s[0:1], s2, 6, v[2:3]
	s_and_b64 s[0:1], vcc, exec
	v_mov_b32_e32 v8, s17
	v_add_co_u32_e32 v7, vcc, s16, v3
	v_addc_co_u32_e32 v8, vcc, v8, v4, vcc
	v_mov_b32_e32 v10, s15
	v_add_co_u32_e32 v9, vcc, s14, v3
	v_addc_co_u32_e32 v10, vcc, v10, v4, vcc
	v_mov_b32_e32 v12, s7
	v_add_co_u32_e32 v11, vcc, s6, v3
	s_cselect_b32 s13, s13, 0
	s_cselect_b32 s12, s12, 0x10000
	s_lshl_b32 s18, s2, 2
	v_addc_co_u32_e32 v12, vcc, v12, v4, vcc
	v_add_co_u32_e32 v3, vcc, s18, v2
	v_addc_co_u32_e64 v4, s[0:1], 0, 0, vcc
	v_mov_b32_e32 v14, s17
	v_add_co_u32_e32 v13, vcc, s16, v3
	v_addc_co_u32_e32 v14, vcc, v14, v4, vcc
	v_mov_b32_e32 v16, s15
	v_add_co_u32_e32 v15, vcc, s14, v3
	v_addc_co_u32_e32 v16, vcc, v16, v4, vcc
	;; [unrolled: 3-line block ×6, first 2 shown]
	v_add_co_u32_e32 v25, vcc, s2, v0
	v_lshlrev_b32_e32 v1, 1, v25
	v_addc_co_u32_e64 v26, s[0:1], 0, 0, vcc
	v_mov_b32_e32 v2, s17
	v_add_co_u32_e32 v27, vcc, s16, v1
	v_addc_co_u32_e32 v28, vcc, 0, v2, vcc
	v_mov_b32_e32 v2, s15
	v_add_co_u32_e32 v29, vcc, s14, v1
	v_addc_co_u32_e32 v30, vcc, 0, v2, vcc
	v_mov_b32_e32 v2, s7
	v_add_co_u32_e32 v31, vcc, s6, v1
	s_mul_i32 s4, s2, 3
	v_addc_co_u32_e32 v32, vcc, 0, v2, vcc
	s_lshl_b32 s3, s2, 1
	v_add_co_u32_e32 v33, vcc, s4, v0
	v_addc_co_u32_e64 v34, s[0:1], 0, 0, vcc
	v_add_co_u32_e32 v35, vcc, s3, v0
	s_mov_b32 s19, 0
	s_lshl_b32 s20, s2, 3
	s_mov_b64 s[14:15], 0
	s_movk_i32 s21, 0x7fff
	v_addc_co_u32_e64 v36, s[0:1], 0, 0, vcc
	v_mov_b32_e32 v37, 0x7fc0
	s_branch .LBB11_9
.LBB11_8:                               ;   in Loop: Header=BB11_9 Depth=1
	s_or_b64 exec, exec, s[0:1]
	v_add_co_u32_e32 v19, vcc, s20, v19
	v_addc_co_u32_e32 v20, vcc, 0, v20, vcc
	v_add_co_u32_e32 v21, vcc, s20, v21
	v_addc_co_u32_e32 v22, vcc, 0, v22, vcc
	;; [unrolled: 2-line block ×10, first 2 shown]
	s_add_u32 s14, s14, s18
	v_add_co_u32_e32 v29, vcc, s20, v29
	v_mov_b32_e32 v1, s10
	s_addc_u32 s15, s15, 0
	v_addc_co_u32_e32 v30, vcc, 0, v30, vcc
	v_mov_b32_e32 v2, s11
	v_cmp_ge_i64_e32 vcc, s[14:15], v[1:2]
	v_add_co_u32_e64 v31, s[0:1], s20, v31
	v_addc_co_u32_e64 v32, s[0:1], 0, v32, s[0:1]
	s_cbranch_vccnz .LBB11_33
.LBB11_9:                               ; =>This Inner Loop Header: Depth=1
	v_mov_b32_e32 v2, s15
	v_add_co_u32_e32 v1, vcc, s14, v0
	v_addc_co_u32_e32 v2, vcc, 0, v2, vcc
	v_cmp_gt_u64_e32 vcc, s[12:13], v[1:2]
	v_mov_b32_e32 v1, 0
	v_mov_b32_e32 v3, 0
	;; [unrolled: 1-line block ×6, first 2 shown]
	s_and_saveexec_b64 s[2:3], vcc
	s_cbranch_execz .LBB11_11
; %bb.10:                               ;   in Loop: Header=BB11_9 Depth=1
	v_mov_b32_e32 v6, s9
	v_add_co_u32_e64 v3, s[0:1], s8, v21
	v_addc_co_u32_e64 v4, s[0:1], v22, v6, s[0:1]
	v_add_co_u32_e64 v5, s[0:1], s8, v19
	v_addc_co_u32_e64 v6, s[0:1], v20, v6, s[0:1]
	global_load_ushort v38, v[5:6], off
	global_load_ushort v39, v[3:4], off
	v_mov_b32_e32 v6, s19
	v_mov_b32_e32 v4, s19
	s_waitcnt vmcnt(1)
	v_and_b32_e32 v5, 0xffff, v38
	s_waitcnt vmcnt(0)
	v_and_b32_e32 v3, 0xffff, v39
.LBB11_11:                              ;   in Loop: Header=BB11_9 Depth=1
	s_or_b64 exec, exec, s[2:3]
	s_and_saveexec_b64 s[2:3], vcc
	s_cbranch_execz .LBB11_13
; %bb.12:                               ;   in Loop: Header=BB11_9 Depth=1
	v_mov_b32_e32 v2, s9
	v_add_co_u32_e64 v1, s[0:1], s8, v23
	v_addc_co_u32_e64 v2, s[0:1], v24, v2, s[0:1]
	global_load_ushort v1, v[1:2], off
	v_mov_b32_e32 v2, s19
	s_waitcnt vmcnt(0)
	v_and_b32_e32 v1, 0xffff, v1
.LBB11_13:                              ;   in Loop: Header=BB11_9 Depth=1
	s_or_b64 exec, exec, s[2:3]
	v_mov_b32_e32 v39, s15
	v_add_co_u32_e64 v38, s[0:1], s14, v25
	v_addc_co_u32_e64 v39, s[0:1], v26, v39, s[0:1]
	v_cmp_gt_u64_e64 s[0:1], s[12:13], v[38:39]
	s_and_saveexec_b64 s[4:5], s[0:1]
	s_cbranch_execz .LBB11_15
; %bb.14:                               ;   in Loop: Header=BB11_9 Depth=1
	v_mov_b32_e32 v40, s9
	v_add_co_u32_e64 v38, s[2:3], s8, v27
	v_addc_co_u32_e64 v39, s[2:3], v28, v40, s[2:3]
	global_load_ushort v41, v[38:39], off
	v_add_co_u32_e64 v38, s[2:3], s8, v29
	v_addc_co_u32_e64 v39, s[2:3], v30, v40, s[2:3]
	global_load_ushort v38, v[38:39], off
	s_waitcnt vmcnt(1)
	v_lshl_or_b32 v5, v41, 16, v5
	s_waitcnt vmcnt(0)
	v_lshl_or_b32 v3, v38, 16, v3
.LBB11_15:                              ;   in Loop: Header=BB11_9 Depth=1
	s_or_b64 exec, exec, s[4:5]
	s_and_saveexec_b64 s[4:5], s[0:1]
	s_cbranch_execz .LBB11_17
; %bb.16:                               ;   in Loop: Header=BB11_9 Depth=1
	v_mov_b32_e32 v39, s9
	v_add_co_u32_e64 v38, s[2:3], s8, v31
	v_addc_co_u32_e64 v39, s[2:3], v32, v39, s[2:3]
	global_load_ushort v38, v[38:39], off
	s_waitcnt vmcnt(0)
	v_lshl_or_b32 v1, v38, 16, v1
.LBB11_17:                              ;   in Loop: Header=BB11_9 Depth=1
	s_or_b64 exec, exec, s[4:5]
	v_mov_b32_e32 v39, s15
	v_add_co_u32_e64 v38, s[2:3], s14, v35
	v_addc_co_u32_e64 v39, s[2:3], v36, v39, s[2:3]
	v_cmp_gt_u64_e64 s[2:3], s[12:13], v[38:39]
	v_cmp_le_u64_e64 s[4:5], s[12:13], v[38:39]
	s_and_saveexec_b64 s[6:7], s[4:5]
	s_xor_b64 s[4:5], exec, s[6:7]
	s_andn2_saveexec_b64 s[6:7], s[4:5]
	s_cbranch_execz .LBB11_19
; %bb.18:                               ;   in Loop: Header=BB11_9 Depth=1
	v_mov_b32_e32 v40, s9
	v_add_co_u32_e64 v38, s[4:5], s8, v13
	v_addc_co_u32_e64 v39, s[4:5], v14, v40, s[4:5]
	global_load_ushort v41, v[38:39], off
	v_add_co_u32_e64 v38, s[4:5], s8, v15
	v_addc_co_u32_e64 v39, s[4:5], v16, v40, s[4:5]
	global_load_ushort v38, v[38:39], off
	s_waitcnt vmcnt(1)
	v_or_b32_e32 v6, v41, v6
	s_waitcnt vmcnt(0)
	v_or_b32_e32 v4, v38, v4
.LBB11_19:                              ;   in Loop: Header=BB11_9 Depth=1
	s_or_b64 exec, exec, s[6:7]
	s_and_saveexec_b64 s[6:7], s[2:3]
	s_cbranch_execz .LBB11_21
; %bb.20:                               ;   in Loop: Header=BB11_9 Depth=1
	v_mov_b32_e32 v39, s9
	v_add_co_u32_e64 v38, s[4:5], s8, v17
	v_addc_co_u32_e64 v39, s[4:5], v18, v39, s[4:5]
	global_load_ushort v38, v[38:39], off
	s_waitcnt vmcnt(0)
	v_or_b32_e32 v2, v38, v2
.LBB11_21:                              ;   in Loop: Header=BB11_9 Depth=1
	s_or_b64 exec, exec, s[6:7]
	v_mov_b32_e32 v39, s15
	v_add_co_u32_e64 v38, s[4:5], s14, v33
	v_addc_co_u32_e64 v39, s[4:5], v34, v39, s[4:5]
	v_cmp_gt_u64_e64 s[4:5], s[12:13], v[38:39]
	s_and_saveexec_b64 s[16:17], s[4:5]
	s_cbranch_execnz .LBB11_27
; %bb.22:                               ;   in Loop: Header=BB11_9 Depth=1
	s_or_b64 exec, exec, s[16:17]
	s_and_saveexec_b64 s[16:17], s[4:5]
	s_cbranch_execnz .LBB11_28
.LBB11_23:                              ;   in Loop: Header=BB11_9 Depth=1
	s_or_b64 exec, exec, s[16:17]
	s_and_saveexec_b64 s[6:7], vcc
	s_cbranch_execnz .LBB11_29
.LBB11_24:                              ;   in Loop: Header=BB11_9 Depth=1
	s_or_b64 exec, exec, s[6:7]
	s_and_saveexec_b64 s[6:7], s[0:1]
	s_cbranch_execnz .LBB11_30
.LBB11_25:                              ;   in Loop: Header=BB11_9 Depth=1
	s_or_b64 exec, exec, s[6:7]
	s_and_saveexec_b64 s[0:1], s[2:3]
	s_cbranch_execnz .LBB11_31
.LBB11_26:                              ;   in Loop: Header=BB11_9 Depth=1
	s_or_b64 exec, exec, s[0:1]
	s_and_saveexec_b64 s[0:1], s[4:5]
	s_cbranch_execz .LBB11_8
	s_branch .LBB11_32
.LBB11_27:                              ;   in Loop: Header=BB11_9 Depth=1
	v_mov_b32_e32 v40, s9
	v_add_co_u32_e64 v38, s[6:7], s8, v7
	v_addc_co_u32_e64 v39, s[6:7], v8, v40, s[6:7]
	global_load_ushort v41, v[38:39], off
	v_add_co_u32_e64 v38, s[6:7], s8, v9
	v_addc_co_u32_e64 v39, s[6:7], v10, v40, s[6:7]
	global_load_ushort v38, v[38:39], off
	v_add_co_u32_e64 v3, s[6:7], 0, v3
	s_waitcnt vmcnt(1)
	v_lshlrev_b32_e32 v39, 16, v41
	v_or_b32_e32 v6, v39, v6
	s_waitcnt vmcnt(0)
	v_lshlrev_b32_e32 v38, 16, v38
	v_addc_co_u32_e64 v4, s[6:7], v38, v4, s[6:7]
	s_or_b64 exec, exec, s[16:17]
	s_and_saveexec_b64 s[16:17], s[4:5]
	s_cbranch_execz .LBB11_23
.LBB11_28:                              ;   in Loop: Header=BB11_9 Depth=1
	v_mov_b32_e32 v39, s9
	v_add_co_u32_e64 v38, s[6:7], s8, v11
	v_addc_co_u32_e64 v39, s[6:7], v12, v39, s[6:7]
	global_load_ushort v38, v[38:39], off
	s_waitcnt vmcnt(0)
	v_lshlrev_b32_e32 v38, 16, v38
	v_or_b32_e32 v2, v38, v2
	s_or_b64 exec, exec, s[16:17]
	s_and_saveexec_b64 s[6:7], vcc
	s_cbranch_execz .LBB11_24
.LBB11_29:                              ;   in Loop: Header=BB11_9 Depth=1
	v_lshlrev_b32_e32 v38, 16, v1
	v_lshlrev_b32_e32 v39, 16, v3
	;; [unrolled: 1-line block ×3, first 2 shown]
	v_sub_f32_e32 v41, v39, v40
	v_sub_f32_e32 v42, 1.0, v38
	v_fmac_f32_e32 v40, v41, v38
	v_fma_f32 v39, -v41, v42, v39
	v_cmp_lt_f32_e64 vcc, |v38|, 0.5
	v_cndmask_b32_e32 v40, v39, v40, vcc
	v_bfe_u32 v38, v40, 16, 1
	v_add3_u32 v41, v40, v38, s21
	v_mov_b32_e32 v39, s9
	v_add_co_u32_e32 v38, vcc, s8, v19
	v_addc_co_u32_e32 v39, vcc, v20, v39, vcc
	v_cmp_o_f32_e32 vcc, v40, v40
	v_cndmask_b32_sdwa v40, v37, v41, vcc dst_sel:DWORD dst_unused:UNUSED_PAD src0_sel:DWORD src1_sel:WORD_1
	global_store_short v[38:39], v40, off
	s_or_b64 exec, exec, s[6:7]
	s_and_saveexec_b64 s[6:7], s[0:1]
	s_cbranch_execz .LBB11_25
.LBB11_30:                              ;   in Loop: Header=BB11_9 Depth=1
	v_and_b32_e32 v38, 0xffff0000, v5
	v_and_b32_e32 v39, 0xffff0000, v3
	;; [unrolled: 1-line block ×3, first 2 shown]
	v_sub_f32_e32 v41, v39, v38
	v_sub_f32_e32 v42, 1.0, v40
	v_fmac_f32_e32 v38, v41, v40
	v_fma_f32 v39, -v41, v42, v39
	v_cmp_lt_f32_e64 vcc, |v40|, 0.5
	v_cndmask_b32_e32 v38, v39, v38, vcc
	v_bfe_u32 v39, v38, 16, 1
	v_add3_u32 v39, v38, v39, s21
	v_cmp_o_f32_e32 vcc, v38, v38
	v_cndmask_b32_sdwa v40, v37, v39, vcc dst_sel:DWORD dst_unused:UNUSED_PAD src0_sel:DWORD src1_sel:WORD_1
	v_mov_b32_e32 v39, s9
	v_add_co_u32_e32 v38, vcc, s8, v27
	v_addc_co_u32_e32 v39, vcc, v28, v39, vcc
	global_store_short v[38:39], v40, off
	s_or_b64 exec, exec, s[6:7]
	s_and_saveexec_b64 s[0:1], s[2:3]
	s_cbranch_execz .LBB11_26
.LBB11_31:                              ;   in Loop: Header=BB11_9 Depth=1
	v_alignbit_b32 v5, v6, v5, 16
	v_alignbit_b32 v3, v4, v3, 16
	;; [unrolled: 1-line block ×3, first 2 shown]
	v_and_b32_e32 v5, 0xffff0000, v5
	v_and_b32_e32 v3, 0xffff0000, v3
	;; [unrolled: 1-line block ×3, first 2 shown]
	v_sub_f32_e32 v38, v3, v5
	v_sub_f32_e32 v39, 1.0, v1
	v_fmac_f32_e32 v5, v38, v1
	v_fma_f32 v3, -v38, v39, v3
	v_cmp_lt_f32_e64 vcc, |v1|, 0.5
	v_cndmask_b32_e32 v1, v3, v5, vcc
	v_bfe_u32 v3, v1, 16, 1
	v_add3_u32 v3, v1, v3, s21
	v_cmp_o_f32_e32 vcc, v1, v1
	v_cndmask_b32_sdwa v1, v37, v3, vcc dst_sel:DWORD dst_unused:UNUSED_PAD src0_sel:DWORD src1_sel:WORD_1
	v_mov_b32_e32 v3, s9
	v_add_co_u32_e32 v38, vcc, s8, v13
	v_addc_co_u32_e32 v39, vcc, v14, v3, vcc
	global_store_short v[38:39], v1, off
	s_or_b64 exec, exec, s[0:1]
	s_and_saveexec_b64 s[0:1], s[4:5]
	s_cbranch_execz .LBB11_8
.LBB11_32:                              ;   in Loop: Header=BB11_9 Depth=1
	v_and_b32_e32 v1, 0xffff0000, v6
	v_and_b32_e32 v3, 0xffff0000, v4
	;; [unrolled: 1-line block ×3, first 2 shown]
	v_sub_f32_e32 v4, v3, v1
	v_sub_f32_e32 v5, 1.0, v2
	v_fmac_f32_e32 v1, v4, v2
	v_fma_f32 v3, -v4, v5, v3
	v_cmp_lt_f32_e64 vcc, |v2|, 0.5
	v_cndmask_b32_e32 v1, v3, v1, vcc
	v_bfe_u32 v2, v1, 16, 1
	v_add3_u32 v2, v1, v2, s21
	v_cmp_o_f32_e32 vcc, v1, v1
	v_cndmask_b32_sdwa v3, v37, v2, vcc dst_sel:DWORD dst_unused:UNUSED_PAD src0_sel:DWORD src1_sel:WORD_1
	v_mov_b32_e32 v2, s9
	v_add_co_u32_e32 v1, vcc, s8, v7
	v_addc_co_u32_e32 v2, vcc, v8, v2, vcc
	global_store_short v[1:2], v3, off
	s_branch .LBB11_8
.LBB11_33:
	s_endpgm
	.section	.rodata,"a",@progbits
	.p2align	6, 0x0
	.amdhsa_kernel _ZN2at6native12_GLOBAL__N_125multi_tensor_apply_kernelINS1_18TensorListMetadataILi3EEENS1_20TernaryOpListFunctorIN3c108BFloat16ELi3ELi3ELi0EEEJNS0_11LerpFunctorIfEEEEEvT_T0_DpT1_
		.amdhsa_group_segment_fixed_size 0
		.amdhsa_private_segment_fixed_size 0
		.amdhsa_kernarg_size 3408
		.amdhsa_user_sgpr_count 6
		.amdhsa_user_sgpr_private_segment_buffer 1
		.amdhsa_user_sgpr_dispatch_ptr 0
		.amdhsa_user_sgpr_queue_ptr 0
		.amdhsa_user_sgpr_kernarg_segment_ptr 1
		.amdhsa_user_sgpr_dispatch_id 0
		.amdhsa_user_sgpr_flat_scratch_init 0
		.amdhsa_user_sgpr_private_segment_size 0
		.amdhsa_uses_dynamic_stack 0
		.amdhsa_system_sgpr_private_segment_wavefront_offset 0
		.amdhsa_system_sgpr_workgroup_id_x 1
		.amdhsa_system_sgpr_workgroup_id_y 0
		.amdhsa_system_sgpr_workgroup_id_z 0
		.amdhsa_system_sgpr_workgroup_info 0
		.amdhsa_system_vgpr_workitem_id 0
		.amdhsa_next_free_vgpr 43
		.amdhsa_next_free_sgpr 25
		.amdhsa_reserve_vcc 1
		.amdhsa_reserve_flat_scratch 0
		.amdhsa_float_round_mode_32 0
		.amdhsa_float_round_mode_16_64 0
		.amdhsa_float_denorm_mode_32 3
		.amdhsa_float_denorm_mode_16_64 3
		.amdhsa_dx10_clamp 1
		.amdhsa_ieee_mode 1
		.amdhsa_fp16_overflow 0
		.amdhsa_exception_fp_ieee_invalid_op 0
		.amdhsa_exception_fp_denorm_src 0
		.amdhsa_exception_fp_ieee_div_zero 0
		.amdhsa_exception_fp_ieee_overflow 0
		.amdhsa_exception_fp_ieee_underflow 0
		.amdhsa_exception_fp_ieee_inexact 0
		.amdhsa_exception_int_div_zero 0
	.end_amdhsa_kernel
	.section	.text._ZN2at6native12_GLOBAL__N_125multi_tensor_apply_kernelINS1_18TensorListMetadataILi3EEENS1_20TernaryOpListFunctorIN3c108BFloat16ELi3ELi3ELi0EEEJNS0_11LerpFunctorIfEEEEEvT_T0_DpT1_,"axG",@progbits,_ZN2at6native12_GLOBAL__N_125multi_tensor_apply_kernelINS1_18TensorListMetadataILi3EEENS1_20TernaryOpListFunctorIN3c108BFloat16ELi3ELi3ELi0EEEJNS0_11LerpFunctorIfEEEEEvT_T0_DpT1_,comdat
.Lfunc_end11:
	.size	_ZN2at6native12_GLOBAL__N_125multi_tensor_apply_kernelINS1_18TensorListMetadataILi3EEENS1_20TernaryOpListFunctorIN3c108BFloat16ELi3ELi3ELi0EEEJNS0_11LerpFunctorIfEEEEEvT_T0_DpT1_, .Lfunc_end11-_ZN2at6native12_GLOBAL__N_125multi_tensor_apply_kernelINS1_18TensorListMetadataILi3EEENS1_20TernaryOpListFunctorIN3c108BFloat16ELi3ELi3ELi0EEEJNS0_11LerpFunctorIfEEEEEvT_T0_DpT1_
                                        ; -- End function
	.set _ZN2at6native12_GLOBAL__N_125multi_tensor_apply_kernelINS1_18TensorListMetadataILi3EEENS1_20TernaryOpListFunctorIN3c108BFloat16ELi3ELi3ELi0EEEJNS0_11LerpFunctorIfEEEEEvT_T0_DpT1_.num_vgpr, 43
	.set _ZN2at6native12_GLOBAL__N_125multi_tensor_apply_kernelINS1_18TensorListMetadataILi3EEENS1_20TernaryOpListFunctorIN3c108BFloat16ELi3ELi3ELi0EEEJNS0_11LerpFunctorIfEEEEEvT_T0_DpT1_.num_agpr, 0
	.set _ZN2at6native12_GLOBAL__N_125multi_tensor_apply_kernelINS1_18TensorListMetadataILi3EEENS1_20TernaryOpListFunctorIN3c108BFloat16ELi3ELi3ELi0EEEJNS0_11LerpFunctorIfEEEEEvT_T0_DpT1_.numbered_sgpr, 25
	.set _ZN2at6native12_GLOBAL__N_125multi_tensor_apply_kernelINS1_18TensorListMetadataILi3EEENS1_20TernaryOpListFunctorIN3c108BFloat16ELi3ELi3ELi0EEEJNS0_11LerpFunctorIfEEEEEvT_T0_DpT1_.num_named_barrier, 0
	.set _ZN2at6native12_GLOBAL__N_125multi_tensor_apply_kernelINS1_18TensorListMetadataILi3EEENS1_20TernaryOpListFunctorIN3c108BFloat16ELi3ELi3ELi0EEEJNS0_11LerpFunctorIfEEEEEvT_T0_DpT1_.private_seg_size, 0
	.set _ZN2at6native12_GLOBAL__N_125multi_tensor_apply_kernelINS1_18TensorListMetadataILi3EEENS1_20TernaryOpListFunctorIN3c108BFloat16ELi3ELi3ELi0EEEJNS0_11LerpFunctorIfEEEEEvT_T0_DpT1_.uses_vcc, 1
	.set _ZN2at6native12_GLOBAL__N_125multi_tensor_apply_kernelINS1_18TensorListMetadataILi3EEENS1_20TernaryOpListFunctorIN3c108BFloat16ELi3ELi3ELi0EEEJNS0_11LerpFunctorIfEEEEEvT_T0_DpT1_.uses_flat_scratch, 0
	.set _ZN2at6native12_GLOBAL__N_125multi_tensor_apply_kernelINS1_18TensorListMetadataILi3EEENS1_20TernaryOpListFunctorIN3c108BFloat16ELi3ELi3ELi0EEEJNS0_11LerpFunctorIfEEEEEvT_T0_DpT1_.has_dyn_sized_stack, 0
	.set _ZN2at6native12_GLOBAL__N_125multi_tensor_apply_kernelINS1_18TensorListMetadataILi3EEENS1_20TernaryOpListFunctorIN3c108BFloat16ELi3ELi3ELi0EEEJNS0_11LerpFunctorIfEEEEEvT_T0_DpT1_.has_recursion, 0
	.set _ZN2at6native12_GLOBAL__N_125multi_tensor_apply_kernelINS1_18TensorListMetadataILi3EEENS1_20TernaryOpListFunctorIN3c108BFloat16ELi3ELi3ELi0EEEJNS0_11LerpFunctorIfEEEEEvT_T0_DpT1_.has_indirect_call, 0
	.section	.AMDGPU.csdata,"",@progbits
; Kernel info:
; codeLenInByte = 2572
; TotalNumSgprs: 29
; NumVgprs: 43
; ScratchSize: 0
; MemoryBound: 0
; FloatMode: 240
; IeeeMode: 1
; LDSByteSize: 0 bytes/workgroup (compile time only)
; SGPRBlocks: 3
; VGPRBlocks: 10
; NumSGPRsForWavesPerEU: 29
; NumVGPRsForWavesPerEU: 43
; Occupancy: 5
; WaveLimiterHint : 0
; COMPUTE_PGM_RSRC2:SCRATCH_EN: 0
; COMPUTE_PGM_RSRC2:USER_SGPR: 6
; COMPUTE_PGM_RSRC2:TRAP_HANDLER: 0
; COMPUTE_PGM_RSRC2:TGID_X_EN: 1
; COMPUTE_PGM_RSRC2:TGID_Y_EN: 0
; COMPUTE_PGM_RSRC2:TGID_Z_EN: 0
; COMPUTE_PGM_RSRC2:TIDIG_COMP_CNT: 0
	.section	.text._ZN2at6native12_GLOBAL__N_125multi_tensor_apply_kernelINS1_18TensorListMetadataILi3EEENS1_22TernaryOpScalarFunctorIdLi3ELi2ELi2EEEJNS0_11LerpFunctorIdEEdEEEvT_T0_DpT1_,"axG",@progbits,_ZN2at6native12_GLOBAL__N_125multi_tensor_apply_kernelINS1_18TensorListMetadataILi3EEENS1_22TernaryOpScalarFunctorIdLi3ELi2ELi2EEEJNS0_11LerpFunctorIdEEdEEEvT_T0_DpT1_,comdat
	.globl	_ZN2at6native12_GLOBAL__N_125multi_tensor_apply_kernelINS1_18TensorListMetadataILi3EEENS1_22TernaryOpScalarFunctorIdLi3ELi2ELi2EEEJNS0_11LerpFunctorIdEEdEEEvT_T0_DpT1_ ; -- Begin function _ZN2at6native12_GLOBAL__N_125multi_tensor_apply_kernelINS1_18TensorListMetadataILi3EEENS1_22TernaryOpScalarFunctorIdLi3ELi2ELi2EEEJNS0_11LerpFunctorIdEEdEEEvT_T0_DpT1_
	.p2align	8
	.type	_ZN2at6native12_GLOBAL__N_125multi_tensor_apply_kernelINS1_18TensorListMetadataILi3EEENS1_22TernaryOpScalarFunctorIdLi3ELi2ELi2EEEJNS0_11LerpFunctorIdEEdEEEvT_T0_DpT1_,@function
_ZN2at6native12_GLOBAL__N_125multi_tensor_apply_kernelINS1_18TensorListMetadataILi3EEENS1_22TernaryOpScalarFunctorIdLi3ELi2ELi2EEEJNS0_11LerpFunctorIdEEdEEEvT_T0_DpT1_: ; @_ZN2at6native12_GLOBAL__N_125multi_tensor_apply_kernelINS1_18TensorListMetadataILi3EEENS1_22TernaryOpScalarFunctorIdLi3ELi2ELi2EEEJNS0_11LerpFunctorIdEEdEEEvT_T0_DpT1_
; %bb.0:
	v_mov_b32_e32 v1, s6
	global_load_ubyte v1, v1, s[4:5] offset:1536
	s_add_u32 s0, s4, s6
	s_mul_hi_u32 s1, s6, 3
	s_mul_i32 s6, s6, 3
	s_addc_u32 s2, s5, 0
	s_add_u32 s0, s0, s6
	s_addc_u32 s1, s2, s1
	s_load_dword s2, s[0:1], 0x740
	s_load_dwordx2 s[10:11], s[4:5], 0xc50
	s_mov_b32 s1, 0
	s_mov_b32 s15, s1
	s_waitcnt lgkmcnt(0)
	s_ashr_i32 s3, s2, 31
	s_lshl_b64 s[12:13], s[2:3], 19
	s_waitcnt vmcnt(0)
	v_readfirstlane_b32 s0, v1
	s_lshl_b32 s0, s0, 3
	s_load_dwordx2 s[18:19], s[4:5], s0 offset:0x0
	s_load_dwordx2 s[20:21], s[4:5], s0 offset:0x480
	;; [unrolled: 1-line block ×4, first 2 shown]
	s_waitcnt lgkmcnt(0)
	s_add_u32 s24, s18, s12
	s_addc_u32 s25, s19, s13
	s_and_b32 s0, s24, 31
	s_add_u32 s26, s8, s12
	s_addc_u32 s27, s9, s13
	s_add_u32 s28, s6, s12
	s_addc_u32 s29, s7, s13
	s_or_b32 s14, s28, s26
	s_and_b32 s14, s14, 31
	s_cmp_lg_u32 s14, 0
	s_cselect_b64 s[22:23], -1, 0
	s_lshl_b64 s[2:3], s[2:3], 16
	s_sub_u32 s16, s20, s2
	s_subb_u32 s17, s21, s3
	s_and_b32 s14, s20, 3
	s_or_b64 s[0:1], s[0:1], s[14:15]
	s_cmp_lg_u64 s[0:1], 0
	s_cselect_b64 s[0:1], -1, 0
	s_or_b64 s[0:1], s[22:23], s[0:1]
	s_andn2_b64 vcc, exec, s[0:1]
	s_mov_b64 s[0:1], -1
	s_cbranch_vccz .LBB12_5
; %bb.1:
	v_mov_b32_e32 v1, 0x10000
	v_mov_b32_e32 v2, 0
	v_cmp_lt_i64_e32 vcc, s[16:17], v[1:2]
	v_mov_b32_e32 v4, 0
	s_and_b64 s[0:1], vcc, exec
	s_cselect_b32 s15, s17, 0
	s_cselect_b32 s14, s16, 0x10000
	v_lshlrev_b32_e32 v3, 2, v0
	v_cmp_gt_i64_e32 vcc, s[14:15], v[3:4]
	s_and_saveexec_b64 s[20:21], vcc
	s_cbranch_execz .LBB12_4
; %bb.2:
	v_cmp_lt_f64_e64 vcc, |s[10:11]|, 0.5
	v_add_f64 v[2:3], -s[10:11], 1.0
	s_load_dword s0, s[4:5], 0xc64
	v_mov_b32_e32 v1, v4
	v_mov_b32_e32 v5, v1
	v_lshlrev_b32_e32 v6, 5, v0
	s_mov_b64 s[22:23], 0
	s_waitcnt lgkmcnt(0)
	s_and_b32 s30, s0, 0xffff
	s_lshl_b32 s31, s30, 5
	v_mov_b32_e32 v4, v0
.LBB12_3:                               ; =>This Inner Loop Header: Depth=1
	v_mov_b32_e32 v7, s27
	v_add_co_u32_e64 v23, s[0:1], s26, v6
	v_mov_b32_e32 v1, s25
	v_add_co_u32_e64 v25, s[2:3], s24, v6
	v_addc_co_u32_e64 v24, s[0:1], 0, v7, s[0:1]
	v_addc_co_u32_e64 v26, s[2:3], 0, v1, s[2:3]
	global_load_dwordx4 v[7:10], v[23:24], off
	global_load_dwordx4 v[11:14], v[25:26], off
	global_load_dwordx4 v[15:18], v[25:26], off offset:16
	global_load_dwordx4 v[19:22], v[23:24], off offset:16
	v_add_co_u32_e64 v4, s[2:3], s30, v4
	v_addc_co_u32_e64 v5, s[2:3], 0, v5, s[2:3]
	v_mov_b32_e32 v1, s29
	v_add_co_u32_e64 v23, s[0:1], s28, v6
	v_lshlrev_b64 v[25:26], 2, v[4:5]
	v_addc_co_u32_e64 v24, s[0:1], 0, v1, s[0:1]
	v_cmp_le_i64_e64 s[0:1], s[14:15], v[25:26]
	s_add_u32 s28, s28, s31
	s_addc_u32 s29, s29, 0
	s_add_u32 s24, s24, s31
	s_addc_u32 s25, s25, 0
	;; [unrolled: 2-line block ×3, first 2 shown]
	s_or_b64 s[22:23], s[0:1], s[22:23]
	s_waitcnt vmcnt(2)
	v_add_f64 v[25:26], v[7:8], -v[11:12]
	v_add_f64 v[27:28], v[9:10], -v[13:14]
	s_waitcnt vmcnt(0)
	v_add_f64 v[29:30], v[19:20], -v[15:16]
	v_add_f64 v[31:32], v[21:22], -v[17:18]
	v_fma_f64 v[11:12], s[10:11], v[25:26], v[11:12]
	v_fma_f64 v[7:8], -v[2:3], v[25:26], v[7:8]
	v_fma_f64 v[13:14], s[10:11], v[27:28], v[13:14]
	v_fma_f64 v[9:10], -v[2:3], v[27:28], v[9:10]
	;; [unrolled: 2-line block ×4, first 2 shown]
	v_cndmask_b32_e32 v8, v8, v12, vcc
	v_cndmask_b32_e32 v7, v7, v11, vcc
	v_cndmask_b32_e32 v10, v10, v14, vcc
	v_cndmask_b32_e32 v9, v9, v13, vcc
	v_cndmask_b32_e32 v12, v20, v16, vcc
	v_cndmask_b32_e32 v11, v19, v15, vcc
	v_cndmask_b32_e32 v14, v22, v18, vcc
	v_cndmask_b32_e32 v13, v21, v17, vcc
	global_store_dwordx4 v[23:24], v[7:10], off
	global_store_dwordx4 v[23:24], v[11:14], off offset:16
	s_andn2_b64 exec, exec, s[22:23]
	s_cbranch_execnz .LBB12_3
.LBB12_4:
	s_or_b64 exec, exec, s[20:21]
	s_mov_b64 s[0:1], 0
.LBB12_5:
	s_andn2_b64 vcc, exec, s[0:1]
	s_cbranch_vccnz .LBB12_25
; %bb.6:
	v_cmp_lt_i64_e64 s[0:1], s[16:17], 1
	s_and_b64 vcc, exec, s[0:1]
	s_cbranch_vccnz .LBB12_25
; %bb.7:
	v_mov_b32_e32 v1, 0x10000
	s_load_dword s2, s[4:5], 0xc64
	v_mov_b32_e32 v2, 0
	v_cmp_lt_i64_e32 vcc, s[16:17], v[1:2]
	v_mov_b32_e32 v3, 0
	s_and_b64 s[0:1], vcc, exec
	s_cselect_b32 s15, s17, 0
	s_cselect_b32 s14, s16, 0x10000
	v_cmp_lt_u64_e32 vcc, s[16:17], v[1:2]
	s_waitcnt lgkmcnt(0)
	s_and_b32 s2, s2, 0xffff
	v_lshlrev_b32_e32 v2, 3, v0
	v_mad_u64_u32 v[3:4], s[0:1], s2, 24, v[2:3]
	s_and_b64 s[0:1], vcc, exec
	v_mov_b32_e32 v7, s19
	v_add_co_u32_e32 v19, vcc, s18, v3
	v_addc_co_u32_e32 v20, vcc, v7, v4, vcc
	v_mov_b32_e32 v7, s9
	v_add_co_u32_e32 v21, vcc, s8, v3
	v_addc_co_u32_e32 v22, vcc, v7, v4, vcc
	v_mov_b32_e32 v7, s7
	v_add_co_u32_e32 v23, vcc, s6, v3
	s_cselect_b32 s17, s17, 0
	s_cselect_b32 s16, s16, 0x10000
	v_addc_co_u32_e32 v24, vcc, v7, v4, vcc
	s_lshl_b32 s0, s2, 4
	v_add_co_u32_e32 v3, vcc, s0, v2
	v_addc_co_u32_e64 v4, s[0:1], 0, 0, vcc
	v_mov_b32_e32 v7, s19
	v_add_co_u32_e32 v25, vcc, s18, v3
	v_addc_co_u32_e32 v26, vcc, v7, v4, vcc
	v_mov_b32_e32 v7, s9
	v_add_co_u32_e32 v27, vcc, s8, v3
	v_addc_co_u32_e32 v28, vcc, v7, v4, vcc
	;; [unrolled: 3-line block ×6, first 2 shown]
	v_add_co_u32_e32 v37, vcc, s2, v0
	v_lshlrev_b32_e32 v1, 3, v37
	s_lshl_b32 s4, s2, 1
	s_mul_i32 s5, s2, 3
	s_lshl_b32 s22, s2, 2
	s_lshl_b32 s23, s2, 5
	v_addc_co_u32_e64 v38, s[2:3], 0, 0, vcc
	v_mov_b32_e32 v2, s19
	v_add_co_u32_e32 v39, vcc, s18, v1
	v_addc_co_u32_e32 v40, vcc, 0, v2, vcc
	v_mov_b32_e32 v2, s9
	v_add_co_u32_e32 v41, vcc, s8, v1
	v_addc_co_u32_e32 v42, vcc, 0, v2, vcc
	v_mov_b32_e32 v2, s7
	v_add_co_u32_e32 v43, vcc, s6, v1
	v_cmp_lt_f64_e64 s[0:1], |s[10:11]|, 0.5
	v_addc_co_u32_e32 v44, vcc, 0, v2, vcc
	v_add_f64 v[1:2], -s[10:11], 1.0
	v_add_co_u32_e32 v45, vcc, s5, v0
	v_addc_co_u32_e64 v46, s[2:3], 0, 0, vcc
	v_add_co_u32_e32 v47, vcc, s4, v0
	s_mov_b64 s[18:19], 0
	v_addc_co_u32_e64 v48, s[2:3], 0, 0, vcc
	s_branch .LBB12_9
.LBB12_8:                               ;   in Loop: Header=BB12_9 Depth=1
	s_or_b64 exec, exec, s[2:3]
	v_add_co_u32_e32 v31, vcc, s23, v31
	v_addc_co_u32_e32 v32, vcc, 0, v32, vcc
	v_add_co_u32_e32 v33, vcc, s23, v33
	v_addc_co_u32_e32 v34, vcc, 0, v34, vcc
	;; [unrolled: 2-line block ×10, first 2 shown]
	s_add_u32 s18, s18, s22
	v_add_co_u32_e32 v41, vcc, s23, v41
	s_waitcnt vmcnt(0)
	v_mov_b32_e32 v3, s14
	s_addc_u32 s19, s19, 0
	v_addc_co_u32_e32 v42, vcc, 0, v42, vcc
	v_mov_b32_e32 v4, s15
	v_cmp_ge_i64_e32 vcc, s[18:19], v[3:4]
	v_add_co_u32_e64 v43, s[2:3], s23, v43
	v_addc_co_u32_e64 v44, s[2:3], 0, v44, s[2:3]
	s_cbranch_vccnz .LBB12_25
.LBB12_9:                               ; =>This Inner Loop Header: Depth=1
	v_mov_b32_e32 v4, s19
	v_add_co_u32_e32 v3, vcc, s18, v0
	v_addc_co_u32_e32 v4, vcc, 0, v4, vcc
	v_cmp_gt_u64_e32 vcc, s[16:17], v[3:4]
	v_mov_b32_e32 v3, 0
	v_mov_b32_e32 v7, 0
	;; [unrolled: 1-line block ×6, first 2 shown]
	s_and_saveexec_b64 s[4:5], vcc
	s_cbranch_execz .LBB12_11
; %bb.10:                               ;   in Loop: Header=BB12_9 Depth=1
	v_mov_b32_e32 v7, s13
	v_add_co_u32_e64 v5, s[2:3], s12, v33
	v_addc_co_u32_e64 v6, s[2:3], v34, v7, s[2:3]
	v_add_co_u32_e64 v11, s[2:3], s12, v31
	v_addc_co_u32_e64 v12, s[2:3], v32, v7, s[2:3]
	global_load_dwordx2 v[9:10], v[11:12], off
	global_load_dwordx2 v[7:8], v[5:6], off
.LBB12_11:                              ;   in Loop: Header=BB12_9 Depth=1
	s_or_b64 exec, exec, s[4:5]
	v_mov_b32_e32 v6, s19
	v_add_co_u32_e64 v5, s[2:3], s18, v37
	v_addc_co_u32_e64 v6, s[2:3], v38, v6, s[2:3]
	v_cmp_gt_u64_e64 s[2:3], s[16:17], v[5:6]
	v_mov_b32_e32 v11, 0
	v_mov_b32_e32 v12, 0
	s_and_saveexec_b64 s[6:7], s[2:3]
	s_cbranch_execz .LBB12_13
; %bb.12:                               ;   in Loop: Header=BB12_9 Depth=1
	v_mov_b32_e32 v3, s13
	v_add_co_u32_e64 v5, s[4:5], s12, v41
	v_addc_co_u32_e64 v6, s[4:5], v42, v3, s[4:5]
	v_add_co_u32_e64 v13, s[4:5], s12, v39
	v_addc_co_u32_e64 v14, s[4:5], v40, v3, s[4:5]
	global_load_dwordx2 v[11:12], v[13:14], off
	global_load_dwordx2 v[3:4], v[5:6], off
.LBB12_13:                              ;   in Loop: Header=BB12_9 Depth=1
	s_or_b64 exec, exec, s[6:7]
	v_mov_b32_e32 v6, s19
	v_add_co_u32_e64 v5, s[4:5], s18, v47
	v_addc_co_u32_e64 v6, s[4:5], v48, v6, s[4:5]
	v_cmp_gt_u64_e64 s[4:5], s[16:17], v[5:6]
	v_mov_b32_e32 v5, 0
	v_mov_b32_e32 v13, 0
	;; [unrolled: 1-line block ×6, first 2 shown]
	s_and_saveexec_b64 s[8:9], s[4:5]
	s_cbranch_execz .LBB12_15
; %bb.14:                               ;   in Loop: Header=BB12_9 Depth=1
	v_mov_b32_e32 v13, s13
	v_add_co_u32_e64 v17, s[6:7], s12, v27
	v_addc_co_u32_e64 v18, s[6:7], v28, v13, s[6:7]
	v_add_co_u32_e64 v49, s[6:7], s12, v25
	v_addc_co_u32_e64 v50, s[6:7], v26, v13, s[6:7]
	global_load_dwordx2 v[15:16], v[49:50], off
	global_load_dwordx2 v[13:14], v[17:18], off
.LBB12_15:                              ;   in Loop: Header=BB12_9 Depth=1
	s_or_b64 exec, exec, s[8:9]
	v_mov_b32_e32 v18, s19
	v_add_co_u32_e64 v17, s[6:7], s18, v45
	v_addc_co_u32_e64 v18, s[6:7], v46, v18, s[6:7]
	v_cmp_gt_u64_e64 s[6:7], s[16:17], v[17:18]
	v_mov_b32_e32 v17, 0
	v_mov_b32_e32 v18, 0
	s_and_saveexec_b64 s[20:21], s[6:7]
	s_cbranch_execnz .LBB12_20
; %bb.16:                               ;   in Loop: Header=BB12_9 Depth=1
	s_or_b64 exec, exec, s[20:21]
	s_and_saveexec_b64 s[8:9], vcc
	s_cbranch_execnz .LBB12_21
.LBB12_17:                              ;   in Loop: Header=BB12_9 Depth=1
	s_or_b64 exec, exec, s[8:9]
	s_and_saveexec_b64 s[8:9], s[2:3]
	s_cbranch_execnz .LBB12_22
.LBB12_18:                              ;   in Loop: Header=BB12_9 Depth=1
	s_or_b64 exec, exec, s[8:9]
	s_and_saveexec_b64 s[2:3], s[4:5]
	s_cbranch_execnz .LBB12_23
.LBB12_19:                              ;   in Loop: Header=BB12_9 Depth=1
	s_or_b64 exec, exec, s[2:3]
	s_and_saveexec_b64 s[2:3], s[6:7]
	s_cbranch_execz .LBB12_8
	s_branch .LBB12_24
.LBB12_20:                              ;   in Loop: Header=BB12_9 Depth=1
	v_mov_b32_e32 v5, s13
	v_add_co_u32_e64 v49, s[8:9], s12, v21
	v_addc_co_u32_e64 v50, s[8:9], v22, v5, s[8:9]
	v_add_co_u32_e64 v51, s[8:9], s12, v19
	v_addc_co_u32_e64 v52, s[8:9], v20, v5, s[8:9]
	global_load_dwordx2 v[17:18], v[51:52], off
	global_load_dwordx2 v[5:6], v[49:50], off
	s_or_b64 exec, exec, s[20:21]
	s_and_saveexec_b64 s[8:9], vcc
	s_cbranch_execz .LBB12_17
.LBB12_21:                              ;   in Loop: Header=BB12_9 Depth=1
	s_waitcnt vmcnt(0)
	v_add_f64 v[49:50], v[7:8], -v[9:10]
	v_fma_f64 v[9:10], s[10:11], v[49:50], v[9:10]
	v_fma_f64 v[7:8], -v[1:2], v[49:50], v[7:8]
	v_mov_b32_e32 v49, s13
	v_cndmask_b32_e64 v7, v7, v9, s[0:1]
	v_add_co_u32_e32 v9, vcc, s12, v35
	v_cndmask_b32_e64 v8, v8, v10, s[0:1]
	v_addc_co_u32_e32 v10, vcc, v36, v49, vcc
	global_store_dwordx2 v[9:10], v[7:8], off
	s_or_b64 exec, exec, s[8:9]
	s_and_saveexec_b64 s[8:9], s[2:3]
	s_cbranch_execz .LBB12_18
.LBB12_22:                              ;   in Loop: Header=BB12_9 Depth=1
	s_waitcnt vmcnt(0)
	v_add_f64 v[7:8], v[3:4], -v[11:12]
	v_fma_f64 v[9:10], s[10:11], v[7:8], v[11:12]
	v_fma_f64 v[3:4], -v[1:2], v[7:8], v[3:4]
	v_mov_b32_e32 v8, s13
	v_add_co_u32_e32 v7, vcc, s12, v43
	v_addc_co_u32_e32 v8, vcc, v44, v8, vcc
	v_cndmask_b32_e64 v4, v4, v10, s[0:1]
	v_cndmask_b32_e64 v3, v3, v9, s[0:1]
	global_store_dwordx2 v[7:8], v[3:4], off
	s_or_b64 exec, exec, s[8:9]
	s_and_saveexec_b64 s[2:3], s[4:5]
	s_cbranch_execz .LBB12_19
.LBB12_23:                              ;   in Loop: Header=BB12_9 Depth=1
	s_waitcnt vmcnt(0)
	v_add_f64 v[3:4], v[13:14], -v[15:16]
	v_mov_b32_e32 v9, s13
	v_fma_f64 v[7:8], s[10:11], v[3:4], v[15:16]
	v_fma_f64 v[3:4], -v[1:2], v[3:4], v[13:14]
	v_cndmask_b32_e64 v3, v3, v7, s[0:1]
	v_add_co_u32_e32 v7, vcc, s12, v29
	v_cndmask_b32_e64 v4, v4, v8, s[0:1]
	v_addc_co_u32_e32 v8, vcc, v30, v9, vcc
	global_store_dwordx2 v[7:8], v[3:4], off
	s_or_b64 exec, exec, s[2:3]
	s_and_saveexec_b64 s[2:3], s[6:7]
	s_cbranch_execz .LBB12_8
.LBB12_24:                              ;   in Loop: Header=BB12_9 Depth=1
	s_waitcnt vmcnt(0)
	v_add_f64 v[3:4], v[5:6], -v[17:18]
	v_fma_f64 v[7:8], s[10:11], v[3:4], v[17:18]
	v_fma_f64 v[3:4], -v[1:2], v[3:4], v[5:6]
	v_mov_b32_e32 v6, s13
	v_add_co_u32_e32 v5, vcc, s12, v23
	v_addc_co_u32_e32 v6, vcc, v24, v6, vcc
	v_cndmask_b32_e64 v4, v4, v8, s[0:1]
	v_cndmask_b32_e64 v3, v3, v7, s[0:1]
	global_store_dwordx2 v[5:6], v[3:4], off
	s_branch .LBB12_8
.LBB12_25:
	s_endpgm
	.section	.rodata,"a",@progbits
	.p2align	6, 0x0
	.amdhsa_kernel _ZN2at6native12_GLOBAL__N_125multi_tensor_apply_kernelINS1_18TensorListMetadataILi3EEENS1_22TernaryOpScalarFunctorIdLi3ELi2ELi2EEEJNS0_11LerpFunctorIdEEdEEEvT_T0_DpT1_
		.amdhsa_group_segment_fixed_size 0
		.amdhsa_private_segment_fixed_size 0
		.amdhsa_kernarg_size 3416
		.amdhsa_user_sgpr_count 6
		.amdhsa_user_sgpr_private_segment_buffer 1
		.amdhsa_user_sgpr_dispatch_ptr 0
		.amdhsa_user_sgpr_queue_ptr 0
		.amdhsa_user_sgpr_kernarg_segment_ptr 1
		.amdhsa_user_sgpr_dispatch_id 0
		.amdhsa_user_sgpr_flat_scratch_init 0
		.amdhsa_user_sgpr_private_segment_size 0
		.amdhsa_uses_dynamic_stack 0
		.amdhsa_system_sgpr_private_segment_wavefront_offset 0
		.amdhsa_system_sgpr_workgroup_id_x 1
		.amdhsa_system_sgpr_workgroup_id_y 0
		.amdhsa_system_sgpr_workgroup_id_z 0
		.amdhsa_system_sgpr_workgroup_info 0
		.amdhsa_system_vgpr_workitem_id 0
		.amdhsa_next_free_vgpr 53
		.amdhsa_next_free_sgpr 32
		.amdhsa_reserve_vcc 1
		.amdhsa_reserve_flat_scratch 0
		.amdhsa_float_round_mode_32 0
		.amdhsa_float_round_mode_16_64 0
		.amdhsa_float_denorm_mode_32 3
		.amdhsa_float_denorm_mode_16_64 3
		.amdhsa_dx10_clamp 1
		.amdhsa_ieee_mode 1
		.amdhsa_fp16_overflow 0
		.amdhsa_exception_fp_ieee_invalid_op 0
		.amdhsa_exception_fp_denorm_src 0
		.amdhsa_exception_fp_ieee_div_zero 0
		.amdhsa_exception_fp_ieee_overflow 0
		.amdhsa_exception_fp_ieee_underflow 0
		.amdhsa_exception_fp_ieee_inexact 0
		.amdhsa_exception_int_div_zero 0
	.end_amdhsa_kernel
	.section	.text._ZN2at6native12_GLOBAL__N_125multi_tensor_apply_kernelINS1_18TensorListMetadataILi3EEENS1_22TernaryOpScalarFunctorIdLi3ELi2ELi2EEEJNS0_11LerpFunctorIdEEdEEEvT_T0_DpT1_,"axG",@progbits,_ZN2at6native12_GLOBAL__N_125multi_tensor_apply_kernelINS1_18TensorListMetadataILi3EEENS1_22TernaryOpScalarFunctorIdLi3ELi2ELi2EEEJNS0_11LerpFunctorIdEEdEEEvT_T0_DpT1_,comdat
.Lfunc_end12:
	.size	_ZN2at6native12_GLOBAL__N_125multi_tensor_apply_kernelINS1_18TensorListMetadataILi3EEENS1_22TernaryOpScalarFunctorIdLi3ELi2ELi2EEEJNS0_11LerpFunctorIdEEdEEEvT_T0_DpT1_, .Lfunc_end12-_ZN2at6native12_GLOBAL__N_125multi_tensor_apply_kernelINS1_18TensorListMetadataILi3EEENS1_22TernaryOpScalarFunctorIdLi3ELi2ELi2EEEJNS0_11LerpFunctorIdEEdEEEvT_T0_DpT1_
                                        ; -- End function
	.set _ZN2at6native12_GLOBAL__N_125multi_tensor_apply_kernelINS1_18TensorListMetadataILi3EEENS1_22TernaryOpScalarFunctorIdLi3ELi2ELi2EEEJNS0_11LerpFunctorIdEEdEEEvT_T0_DpT1_.num_vgpr, 53
	.set _ZN2at6native12_GLOBAL__N_125multi_tensor_apply_kernelINS1_18TensorListMetadataILi3EEENS1_22TernaryOpScalarFunctorIdLi3ELi2ELi2EEEJNS0_11LerpFunctorIdEEdEEEvT_T0_DpT1_.num_agpr, 0
	.set _ZN2at6native12_GLOBAL__N_125multi_tensor_apply_kernelINS1_18TensorListMetadataILi3EEENS1_22TernaryOpScalarFunctorIdLi3ELi2ELi2EEEJNS0_11LerpFunctorIdEEdEEEvT_T0_DpT1_.numbered_sgpr, 32
	.set _ZN2at6native12_GLOBAL__N_125multi_tensor_apply_kernelINS1_18TensorListMetadataILi3EEENS1_22TernaryOpScalarFunctorIdLi3ELi2ELi2EEEJNS0_11LerpFunctorIdEEdEEEvT_T0_DpT1_.num_named_barrier, 0
	.set _ZN2at6native12_GLOBAL__N_125multi_tensor_apply_kernelINS1_18TensorListMetadataILi3EEENS1_22TernaryOpScalarFunctorIdLi3ELi2ELi2EEEJNS0_11LerpFunctorIdEEdEEEvT_T0_DpT1_.private_seg_size, 0
	.set _ZN2at6native12_GLOBAL__N_125multi_tensor_apply_kernelINS1_18TensorListMetadataILi3EEENS1_22TernaryOpScalarFunctorIdLi3ELi2ELi2EEEJNS0_11LerpFunctorIdEEdEEEvT_T0_DpT1_.uses_vcc, 1
	.set _ZN2at6native12_GLOBAL__N_125multi_tensor_apply_kernelINS1_18TensorListMetadataILi3EEENS1_22TernaryOpScalarFunctorIdLi3ELi2ELi2EEEJNS0_11LerpFunctorIdEEdEEEvT_T0_DpT1_.uses_flat_scratch, 0
	.set _ZN2at6native12_GLOBAL__N_125multi_tensor_apply_kernelINS1_18TensorListMetadataILi3EEENS1_22TernaryOpScalarFunctorIdLi3ELi2ELi2EEEJNS0_11LerpFunctorIdEEdEEEvT_T0_DpT1_.has_dyn_sized_stack, 0
	.set _ZN2at6native12_GLOBAL__N_125multi_tensor_apply_kernelINS1_18TensorListMetadataILi3EEENS1_22TernaryOpScalarFunctorIdLi3ELi2ELi2EEEJNS0_11LerpFunctorIdEEdEEEvT_T0_DpT1_.has_recursion, 0
	.set _ZN2at6native12_GLOBAL__N_125multi_tensor_apply_kernelINS1_18TensorListMetadataILi3EEENS1_22TernaryOpScalarFunctorIdLi3ELi2ELi2EEEJNS0_11LerpFunctorIdEEdEEEvT_T0_DpT1_.has_indirect_call, 0
	.section	.AMDGPU.csdata,"",@progbits
; Kernel info:
; codeLenInByte = 1908
; TotalNumSgprs: 36
; NumVgprs: 53
; ScratchSize: 0
; MemoryBound: 0
; FloatMode: 240
; IeeeMode: 1
; LDSByteSize: 0 bytes/workgroup (compile time only)
; SGPRBlocks: 4
; VGPRBlocks: 13
; NumSGPRsForWavesPerEU: 36
; NumVGPRsForWavesPerEU: 53
; Occupancy: 4
; WaveLimiterHint : 0
; COMPUTE_PGM_RSRC2:SCRATCH_EN: 0
; COMPUTE_PGM_RSRC2:USER_SGPR: 6
; COMPUTE_PGM_RSRC2:TRAP_HANDLER: 0
; COMPUTE_PGM_RSRC2:TGID_X_EN: 1
; COMPUTE_PGM_RSRC2:TGID_Y_EN: 0
; COMPUTE_PGM_RSRC2:TGID_Z_EN: 0
; COMPUTE_PGM_RSRC2:TIDIG_COMP_CNT: 0
	.section	.text._ZN2at6native12_GLOBAL__N_125multi_tensor_apply_kernelINS1_18TensorListMetadataILi3EEENS1_22TernaryOpScalarFunctorIfLi3ELi2ELi2EEEJNS0_11LerpFunctorIfEEfEEEvT_T0_DpT1_,"axG",@progbits,_ZN2at6native12_GLOBAL__N_125multi_tensor_apply_kernelINS1_18TensorListMetadataILi3EEENS1_22TernaryOpScalarFunctorIfLi3ELi2ELi2EEEJNS0_11LerpFunctorIfEEfEEEvT_T0_DpT1_,comdat
	.globl	_ZN2at6native12_GLOBAL__N_125multi_tensor_apply_kernelINS1_18TensorListMetadataILi3EEENS1_22TernaryOpScalarFunctorIfLi3ELi2ELi2EEEJNS0_11LerpFunctorIfEEfEEEvT_T0_DpT1_ ; -- Begin function _ZN2at6native12_GLOBAL__N_125multi_tensor_apply_kernelINS1_18TensorListMetadataILi3EEENS1_22TernaryOpScalarFunctorIfLi3ELi2ELi2EEEJNS0_11LerpFunctorIfEEfEEEvT_T0_DpT1_
	.p2align	8
	.type	_ZN2at6native12_GLOBAL__N_125multi_tensor_apply_kernelINS1_18TensorListMetadataILi3EEENS1_22TernaryOpScalarFunctorIfLi3ELi2ELi2EEEJNS0_11LerpFunctorIfEEfEEEvT_T0_DpT1_,@function
_ZN2at6native12_GLOBAL__N_125multi_tensor_apply_kernelINS1_18TensorListMetadataILi3EEENS1_22TernaryOpScalarFunctorIfLi3ELi2ELi2EEEJNS0_11LerpFunctorIfEEfEEEvT_T0_DpT1_: ; @_ZN2at6native12_GLOBAL__N_125multi_tensor_apply_kernelINS1_18TensorListMetadataILi3EEENS1_22TernaryOpScalarFunctorIfLi3ELi2ELi2EEEJNS0_11LerpFunctorIfEEfEEEvT_T0_DpT1_
; %bb.0:
	v_mov_b32_e32 v1, s6
	global_load_ubyte v1, v1, s[4:5] offset:1536
	s_add_u32 s0, s4, s6
	s_mul_hi_u32 s1, s6, 3
	s_mul_i32 s6, s6, 3
	s_addc_u32 s2, s5, 0
	s_add_u32 s0, s0, s6
	s_addc_u32 s1, s2, s1
	s_load_dword s2, s[0:1], 0x740
	s_load_dword s22, s[4:5], 0xc4c
	s_mov_b32 s1, 0
	s_mov_b32 s13, s1
	s_waitcnt lgkmcnt(0)
	s_ashr_i32 s3, s2, 31
	s_lshl_b64 s[10:11], s[2:3], 18
	s_waitcnt vmcnt(0)
	v_readfirstlane_b32 s0, v1
	s_lshl_b32 s0, s0, 3
	s_load_dwordx2 s[16:17], s[4:5], s0 offset:0x0
	s_load_dwordx2 s[18:19], s[4:5], s0 offset:0x480
	;; [unrolled: 1-line block ×4, first 2 shown]
	s_waitcnt lgkmcnt(0)
	s_add_u32 s23, s16, s10
	s_addc_u32 s24, s17, s11
	s_and_b32 s0, s23, 15
	s_add_u32 s25, s8, s10
	s_addc_u32 s26, s9, s11
	s_add_u32 s27, s6, s10
	s_addc_u32 s28, s7, s11
	s_or_b32 s12, s27, s25
	s_and_b32 s12, s12, 15
	s_cmp_lg_u32 s12, 0
	s_cselect_b64 s[20:21], -1, 0
	s_lshl_b64 s[2:3], s[2:3], 16
	s_sub_u32 s14, s18, s2
	s_subb_u32 s15, s19, s3
	s_and_b32 s12, s18, 3
	s_or_b64 s[0:1], s[0:1], s[12:13]
	s_cmp_lg_u64 s[0:1], 0
	s_cselect_b64 s[0:1], -1, 0
	s_or_b64 s[0:1], s[20:21], s[0:1]
	s_andn2_b64 vcc, exec, s[0:1]
	s_mov_b64 s[0:1], -1
	s_cbranch_vccz .LBB13_5
; %bb.1:
	v_mov_b32_e32 v1, 0x10000
	v_mov_b32_e32 v2, 0
	v_cmp_lt_i64_e32 vcc, s[14:15], v[1:2]
	v_mov_b32_e32 v2, 0
	s_and_b64 s[0:1], vcc, exec
	s_cselect_b32 s13, s15, 0
	s_cselect_b32 s12, s14, 0x10000
	v_lshlrev_b32_e32 v1, 2, v0
	v_cmp_gt_i64_e32 vcc, s[12:13], v[1:2]
	s_and_saveexec_b64 s[18:19], vcc
	s_cbranch_execz .LBB13_4
; %bb.2:
	s_load_dword s0, s[4:5], 0xc5c
	v_mov_b32_e32 v1, v2
	v_mov_b32_e32 v2, v1
	v_cmp_lt_f32_e64 vcc, |s22|, 0.5
	v_sub_f32_e64 v3, 1.0, s22
	s_waitcnt lgkmcnt(0)
	s_and_b32 s29, s0, 0xffff
	v_lshlrev_b32_e32 v4, 4, v0
	s_lshl_b32 s30, s29, 4
	s_mov_b64 s[20:21], 0
	v_mov_b32_e32 v1, v0
.LBB13_3:                               ; =>This Inner Loop Header: Depth=1
	v_mov_b32_e32 v5, s24
	v_add_co_u32_e64 v15, s[2:3], s23, v4
	v_mov_b32_e32 v6, s26
	v_add_co_u32_e64 v13, s[0:1], s25, v4
	v_addc_co_u32_e64 v16, s[2:3], 0, v5, s[2:3]
	v_addc_co_u32_e64 v14, s[0:1], 0, v6, s[0:1]
	global_load_dwordx4 v[5:8], v[15:16], off
	global_load_dwordx4 v[9:12], v[13:14], off
	v_add_co_u32_e64 v13, s[0:1], s27, v4
	v_add_co_u32_e64 v1, s[2:3], s29, v1
	s_add_u32 s27, s27, s30
	v_mov_b32_e32 v14, s28
	v_addc_co_u32_e64 v2, s[2:3], 0, v2, s[2:3]
	s_addc_u32 s28, s28, 0
	v_lshlrev_b64 v[15:16], 2, v[1:2]
	s_add_u32 s23, s23, s30
	v_addc_co_u32_e64 v14, s[0:1], 0, v14, s[0:1]
	s_addc_u32 s24, s24, 0
	v_cmp_le_i64_e64 s[0:1], s[12:13], v[15:16]
	s_add_u32 s25, s25, s30
	s_addc_u32 s26, s26, 0
	s_or_b64 s[20:21], s[0:1], s[20:21]
	s_waitcnt vmcnt(0)
	v_sub_f32_e32 v15, v9, v5
	v_sub_f32_e32 v16, v10, v6
	;; [unrolled: 1-line block ×4, first 2 shown]
	v_fma_f32 v5, s22, v15, v5
	v_fma_f32 v9, -v3, v15, v9
	v_fma_f32 v6, s22, v16, v6
	v_fma_f32 v10, -v3, v16, v10
	;; [unrolled: 2-line block ×3, first 2 shown]
	v_fmac_f32_e32 v8, s22, v18
	v_fma_f32 v12, -v3, v18, v12
	v_cndmask_b32_e32 v5, v9, v5, vcc
	v_cndmask_b32_e32 v6, v10, v6, vcc
	;; [unrolled: 1-line block ×4, first 2 shown]
	global_store_dwordx4 v[13:14], v[5:8], off
	s_andn2_b64 exec, exec, s[20:21]
	s_cbranch_execnz .LBB13_3
.LBB13_4:
	s_or_b64 exec, exec, s[18:19]
	s_mov_b64 s[0:1], 0
.LBB13_5:
	s_andn2_b64 vcc, exec, s[0:1]
	s_cbranch_vccnz .LBB13_25
; %bb.6:
	v_cmp_lt_i64_e64 s[0:1], s[14:15], 1
	s_and_b64 vcc, exec, s[0:1]
	s_cbranch_vccnz .LBB13_25
; %bb.7:
	v_mov_b32_e32 v1, 0x10000
	s_load_dword s2, s[4:5], 0xc5c
	v_mov_b32_e32 v2, 0
	v_cmp_lt_i64_e32 vcc, s[14:15], v[1:2]
	v_mov_b32_e32 v18, 0
	s_and_b64 s[0:1], vcc, exec
	s_cselect_b32 s13, s15, 0
	s_cselect_b32 s12, s14, 0x10000
	s_waitcnt lgkmcnt(0)
	s_and_b32 s2, s2, 0xffff
	v_lshlrev_b32_e32 v17, 2, v0
	v_mad_u64_u32 v[5:6], s[0:1], s2, 12, v[17:18]
	v_cmp_lt_u64_e32 vcc, s[14:15], v[1:2]
	v_mov_b32_e32 v2, s17
	s_and_b64 s[0:1], vcc, exec
	v_add_co_u32_e32 v1, vcc, s16, v5
	v_addc_co_u32_e32 v2, vcc, v2, v6, vcc
	v_mov_b32_e32 v4, s9
	v_add_co_u32_e32 v3, vcc, s8, v5
	v_addc_co_u32_e32 v4, vcc, v4, v6, vcc
	v_mov_b32_e32 v7, s7
	v_add_co_u32_e32 v5, vcc, s6, v5
	s_cselect_b32 s15, s15, 0
	s_cselect_b32 s14, s14, 0x10000
	v_addc_co_u32_e32 v6, vcc, v7, v6, vcc
	s_lshl_b32 s0, s2, 3
	v_add_co_u32_e32 v11, vcc, s0, v17
	v_addc_co_u32_e64 v12, s[0:1], 0, 0, vcc
	v_mov_b32_e32 v8, s17
	v_add_co_u32_e32 v7, vcc, s16, v11
	v_addc_co_u32_e32 v8, vcc, v8, v12, vcc
	v_mov_b32_e32 v10, s9
	v_add_co_u32_e32 v9, vcc, s8, v11
	v_addc_co_u32_e32 v10, vcc, v10, v12, vcc
	;; [unrolled: 3-line block ×6, first 2 shown]
	v_add_co_u32_e32 v19, vcc, s2, v0
	v_lshlrev_b32_e32 v25, 2, v19
	s_lshl_b32 s4, s2, 1
	s_mul_i32 s5, s2, 3
	s_lshl_b32 s20, s2, 2
	s_lshl_b32 s21, s2, 4
	v_addc_co_u32_e64 v20, s[2:3], 0, 0, vcc
	v_mov_b32_e32 v22, s17
	v_add_co_u32_e32 v21, vcc, s16, v25
	v_addc_co_u32_e32 v22, vcc, 0, v22, vcc
	v_mov_b32_e32 v24, s9
	v_add_co_u32_e32 v23, vcc, s8, v25
	v_addc_co_u32_e32 v24, vcc, 0, v24, vcc
	;; [unrolled: 3-line block ×3, first 2 shown]
	v_add_co_u32_e32 v28, vcc, s5, v0
	v_addc_co_u32_e64 v29, s[2:3], 0, 0, vcc
	v_add_co_u32_e32 v30, vcc, s4, v0
	v_cmp_lt_f32_e64 s[0:1], |s22|, 0.5
	s_mov_b64 s[16:17], 0
	v_sub_f32_e64 v27, 1.0, s22
	v_addc_co_u32_e64 v31, s[2:3], 0, 0, vcc
	s_branch .LBB13_9
.LBB13_8:                               ;   in Loop: Header=BB13_9 Depth=1
	s_or_b64 exec, exec, s[2:3]
	v_add_co_u32_e32 v13, vcc, s21, v13
	v_addc_co_u32_e32 v14, vcc, 0, v14, vcc
	v_add_co_u32_e32 v15, vcc, s21, v15
	v_addc_co_u32_e32 v16, vcc, 0, v16, vcc
	;; [unrolled: 2-line block ×10, first 2 shown]
	s_add_u32 s16, s16, s20
	v_add_co_u32_e32 v23, vcc, s21, v23
	s_waitcnt vmcnt(0)
	v_mov_b32_e32 v33, s13
	s_addc_u32 s17, s17, 0
	v_addc_co_u32_e32 v24, vcc, 0, v24, vcc
	v_mov_b32_e32 v32, s12
	v_cmp_ge_i64_e32 vcc, s[16:17], v[32:33]
	v_add_co_u32_e64 v25, s[2:3], s21, v25
	v_addc_co_u32_e64 v26, s[2:3], 0, v26, s[2:3]
	s_cbranch_vccnz .LBB13_25
.LBB13_9:                               ; =>This Inner Loop Header: Depth=1
	v_mov_b32_e32 v33, s17
	v_add_co_u32_e32 v32, vcc, s16, v0
	v_addc_co_u32_e32 v33, vcc, 0, v33, vcc
	v_cmp_gt_u64_e32 vcc, s[14:15], v[32:33]
	v_mov_b32_e32 v33, 0
	v_mov_b32_e32 v32, 0
	s_and_saveexec_b64 s[4:5], vcc
	s_cbranch_execz .LBB13_11
; %bb.10:                               ;   in Loop: Header=BB13_9 Depth=1
	v_mov_b32_e32 v32, s11
	v_add_co_u32_e64 v34, s[2:3], s10, v15
	v_addc_co_u32_e64 v35, s[2:3], v16, v32, s[2:3]
	v_add_co_u32_e64 v36, s[2:3], s10, v13
	v_addc_co_u32_e64 v37, s[2:3], v14, v32, s[2:3]
	global_load_dword v32, v[36:37], off
	global_load_dword v33, v[34:35], off
.LBB13_11:                              ;   in Loop: Header=BB13_9 Depth=1
	s_or_b64 exec, exec, s[4:5]
	v_mov_b32_e32 v35, s17
	v_add_co_u32_e64 v34, s[2:3], s16, v19
	v_addc_co_u32_e64 v35, s[2:3], v20, v35, s[2:3]
	v_cmp_gt_u64_e64 s[2:3], s[14:15], v[34:35]
	v_mov_b32_e32 v34, 0
	v_mov_b32_e32 v36, 0
	;; [unrolled: 1-line block ×3, first 2 shown]
	s_and_saveexec_b64 s[6:7], s[2:3]
	s_cbranch_execz .LBB13_13
; %bb.12:                               ;   in Loop: Header=BB13_9 Depth=1
	v_mov_b32_e32 v35, s11
	v_add_co_u32_e64 v37, s[4:5], s10, v23
	v_addc_co_u32_e64 v38, s[4:5], v24, v35, s[4:5]
	v_add_co_u32_e64 v39, s[4:5], s10, v21
	v_addc_co_u32_e64 v40, s[4:5], v22, v35, s[4:5]
	global_load_dword v35, v[39:40], off
	global_load_dword v36, v[37:38], off
.LBB13_13:                              ;   in Loop: Header=BB13_9 Depth=1
	s_or_b64 exec, exec, s[6:7]
	v_mov_b32_e32 v38, s17
	v_add_co_u32_e64 v37, s[4:5], s16, v30
	v_addc_co_u32_e64 v38, s[4:5], v31, v38, s[4:5]
	v_cmp_gt_u64_e64 s[4:5], s[14:15], v[37:38]
	v_mov_b32_e32 v37, 0
	s_and_saveexec_b64 s[8:9], s[4:5]
	s_cbranch_execz .LBB13_15
; %bb.14:                               ;   in Loop: Header=BB13_9 Depth=1
	v_mov_b32_e32 v34, s11
	v_add_co_u32_e64 v38, s[6:7], s10, v9
	v_addc_co_u32_e64 v39, s[6:7], v10, v34, s[6:7]
	v_add_co_u32_e64 v40, s[6:7], s10, v7
	v_addc_co_u32_e64 v41, s[6:7], v8, v34, s[6:7]
	global_load_dword v37, v[40:41], off
	global_load_dword v34, v[38:39], off
.LBB13_15:                              ;   in Loop: Header=BB13_9 Depth=1
	s_or_b64 exec, exec, s[8:9]
	v_mov_b32_e32 v39, s17
	v_add_co_u32_e64 v38, s[6:7], s16, v28
	v_addc_co_u32_e64 v39, s[6:7], v29, v39, s[6:7]
	v_cmp_gt_u64_e64 s[6:7], s[14:15], v[38:39]
	v_mov_b32_e32 v38, 0
	v_mov_b32_e32 v39, 0
	s_and_saveexec_b64 s[18:19], s[6:7]
	s_cbranch_execnz .LBB13_20
; %bb.16:                               ;   in Loop: Header=BB13_9 Depth=1
	s_or_b64 exec, exec, s[18:19]
	s_and_saveexec_b64 s[8:9], vcc
	s_cbranch_execnz .LBB13_21
.LBB13_17:                              ;   in Loop: Header=BB13_9 Depth=1
	s_or_b64 exec, exec, s[8:9]
	s_and_saveexec_b64 s[8:9], s[2:3]
	s_cbranch_execnz .LBB13_22
.LBB13_18:                              ;   in Loop: Header=BB13_9 Depth=1
	s_or_b64 exec, exec, s[8:9]
	s_and_saveexec_b64 s[2:3], s[4:5]
	s_cbranch_execnz .LBB13_23
.LBB13_19:                              ;   in Loop: Header=BB13_9 Depth=1
	s_or_b64 exec, exec, s[2:3]
	s_and_saveexec_b64 s[2:3], s[6:7]
	s_cbranch_execz .LBB13_8
	s_branch .LBB13_24
.LBB13_20:                              ;   in Loop: Header=BB13_9 Depth=1
	v_mov_b32_e32 v38, s11
	v_add_co_u32_e64 v40, s[8:9], s10, v3
	v_addc_co_u32_e64 v41, s[8:9], v4, v38, s[8:9]
	v_add_co_u32_e64 v42, s[8:9], s10, v1
	v_addc_co_u32_e64 v43, s[8:9], v2, v38, s[8:9]
	global_load_dword v39, v[42:43], off
	global_load_dword v38, v[40:41], off
	s_or_b64 exec, exec, s[18:19]
	s_and_saveexec_b64 s[8:9], vcc
	s_cbranch_execz .LBB13_17
.LBB13_21:                              ;   in Loop: Header=BB13_9 Depth=1
	s_waitcnt vmcnt(0)
	v_sub_f32_e32 v42, v33, v32
	v_mov_b32_e32 v41, s11
	v_add_co_u32_e32 v40, vcc, s10, v17
	v_fmac_f32_e32 v32, s22, v42
	v_fma_f32 v33, -v27, v42, v33
	v_addc_co_u32_e32 v41, vcc, v18, v41, vcc
	v_cndmask_b32_e64 v32, v33, v32, s[0:1]
	global_store_dword v[40:41], v32, off
	s_or_b64 exec, exec, s[8:9]
	s_and_saveexec_b64 s[8:9], s[2:3]
	s_cbranch_execz .LBB13_18
.LBB13_22:                              ;   in Loop: Header=BB13_9 Depth=1
	s_waitcnt vmcnt(0)
	v_sub_f32_e32 v32, v36, v35
	v_fmac_f32_e32 v35, s22, v32
	v_fma_f32 v32, -v27, v32, v36
	v_cndmask_b32_e64 v35, v32, v35, s[0:1]
	v_mov_b32_e32 v33, s11
	v_add_co_u32_e32 v32, vcc, s10, v25
	v_addc_co_u32_e32 v33, vcc, v26, v33, vcc
	global_store_dword v[32:33], v35, off
	s_or_b64 exec, exec, s[8:9]
	s_and_saveexec_b64 s[2:3], s[4:5]
	s_cbranch_execz .LBB13_19
.LBB13_23:                              ;   in Loop: Header=BB13_9 Depth=1
	s_waitcnt vmcnt(0)
	v_sub_f32_e32 v32, v34, v37
	v_fmac_f32_e32 v37, s22, v32
	v_fma_f32 v32, -v27, v32, v34
	v_cndmask_b32_e64 v34, v32, v37, s[0:1]
	v_mov_b32_e32 v33, s11
	v_add_co_u32_e32 v32, vcc, s10, v11
	v_addc_co_u32_e32 v33, vcc, v12, v33, vcc
	global_store_dword v[32:33], v34, off
	s_or_b64 exec, exec, s[2:3]
	s_and_saveexec_b64 s[2:3], s[6:7]
	s_cbranch_execz .LBB13_8
.LBB13_24:                              ;   in Loop: Header=BB13_9 Depth=1
	s_waitcnt vmcnt(0)
	v_sub_f32_e32 v32, v38, v39
	v_fmac_f32_e32 v39, s22, v32
	v_fma_f32 v32, -v27, v32, v38
	v_cndmask_b32_e64 v34, v32, v39, s[0:1]
	v_mov_b32_e32 v33, s11
	v_add_co_u32_e32 v32, vcc, s10, v5
	v_addc_co_u32_e32 v33, vcc, v6, v33, vcc
	global_store_dword v[32:33], v34, off
	s_branch .LBB13_8
.LBB13_25:
	s_endpgm
	.section	.rodata,"a",@progbits
	.p2align	6, 0x0
	.amdhsa_kernel _ZN2at6native12_GLOBAL__N_125multi_tensor_apply_kernelINS1_18TensorListMetadataILi3EEENS1_22TernaryOpScalarFunctorIfLi3ELi2ELi2EEEJNS0_11LerpFunctorIfEEfEEEvT_T0_DpT1_
		.amdhsa_group_segment_fixed_size 0
		.amdhsa_private_segment_fixed_size 0
		.amdhsa_kernarg_size 3408
		.amdhsa_user_sgpr_count 6
		.amdhsa_user_sgpr_private_segment_buffer 1
		.amdhsa_user_sgpr_dispatch_ptr 0
		.amdhsa_user_sgpr_queue_ptr 0
		.amdhsa_user_sgpr_kernarg_segment_ptr 1
		.amdhsa_user_sgpr_dispatch_id 0
		.amdhsa_user_sgpr_flat_scratch_init 0
		.amdhsa_user_sgpr_private_segment_size 0
		.amdhsa_uses_dynamic_stack 0
		.amdhsa_system_sgpr_private_segment_wavefront_offset 0
		.amdhsa_system_sgpr_workgroup_id_x 1
		.amdhsa_system_sgpr_workgroup_id_y 0
		.amdhsa_system_sgpr_workgroup_id_z 0
		.amdhsa_system_sgpr_workgroup_info 0
		.amdhsa_system_vgpr_workitem_id 0
		.amdhsa_next_free_vgpr 44
		.amdhsa_next_free_sgpr 31
		.amdhsa_reserve_vcc 1
		.amdhsa_reserve_flat_scratch 0
		.amdhsa_float_round_mode_32 0
		.amdhsa_float_round_mode_16_64 0
		.amdhsa_float_denorm_mode_32 3
		.amdhsa_float_denorm_mode_16_64 3
		.amdhsa_dx10_clamp 1
		.amdhsa_ieee_mode 1
		.amdhsa_fp16_overflow 0
		.amdhsa_exception_fp_ieee_invalid_op 0
		.amdhsa_exception_fp_denorm_src 0
		.amdhsa_exception_fp_ieee_div_zero 0
		.amdhsa_exception_fp_ieee_overflow 0
		.amdhsa_exception_fp_ieee_underflow 0
		.amdhsa_exception_fp_ieee_inexact 0
		.amdhsa_exception_int_div_zero 0
	.end_amdhsa_kernel
	.section	.text._ZN2at6native12_GLOBAL__N_125multi_tensor_apply_kernelINS1_18TensorListMetadataILi3EEENS1_22TernaryOpScalarFunctorIfLi3ELi2ELi2EEEJNS0_11LerpFunctorIfEEfEEEvT_T0_DpT1_,"axG",@progbits,_ZN2at6native12_GLOBAL__N_125multi_tensor_apply_kernelINS1_18TensorListMetadataILi3EEENS1_22TernaryOpScalarFunctorIfLi3ELi2ELi2EEEJNS0_11LerpFunctorIfEEfEEEvT_T0_DpT1_,comdat
.Lfunc_end13:
	.size	_ZN2at6native12_GLOBAL__N_125multi_tensor_apply_kernelINS1_18TensorListMetadataILi3EEENS1_22TernaryOpScalarFunctorIfLi3ELi2ELi2EEEJNS0_11LerpFunctorIfEEfEEEvT_T0_DpT1_, .Lfunc_end13-_ZN2at6native12_GLOBAL__N_125multi_tensor_apply_kernelINS1_18TensorListMetadataILi3EEENS1_22TernaryOpScalarFunctorIfLi3ELi2ELi2EEEJNS0_11LerpFunctorIfEEfEEEvT_T0_DpT1_
                                        ; -- End function
	.set _ZN2at6native12_GLOBAL__N_125multi_tensor_apply_kernelINS1_18TensorListMetadataILi3EEENS1_22TernaryOpScalarFunctorIfLi3ELi2ELi2EEEJNS0_11LerpFunctorIfEEfEEEvT_T0_DpT1_.num_vgpr, 44
	.set _ZN2at6native12_GLOBAL__N_125multi_tensor_apply_kernelINS1_18TensorListMetadataILi3EEENS1_22TernaryOpScalarFunctorIfLi3ELi2ELi2EEEJNS0_11LerpFunctorIfEEfEEEvT_T0_DpT1_.num_agpr, 0
	.set _ZN2at6native12_GLOBAL__N_125multi_tensor_apply_kernelINS1_18TensorListMetadataILi3EEENS1_22TernaryOpScalarFunctorIfLi3ELi2ELi2EEEJNS0_11LerpFunctorIfEEfEEEvT_T0_DpT1_.numbered_sgpr, 31
	.set _ZN2at6native12_GLOBAL__N_125multi_tensor_apply_kernelINS1_18TensorListMetadataILi3EEENS1_22TernaryOpScalarFunctorIfLi3ELi2ELi2EEEJNS0_11LerpFunctorIfEEfEEEvT_T0_DpT1_.num_named_barrier, 0
	.set _ZN2at6native12_GLOBAL__N_125multi_tensor_apply_kernelINS1_18TensorListMetadataILi3EEENS1_22TernaryOpScalarFunctorIfLi3ELi2ELi2EEEJNS0_11LerpFunctorIfEEfEEEvT_T0_DpT1_.private_seg_size, 0
	.set _ZN2at6native12_GLOBAL__N_125multi_tensor_apply_kernelINS1_18TensorListMetadataILi3EEENS1_22TernaryOpScalarFunctorIfLi3ELi2ELi2EEEJNS0_11LerpFunctorIfEEfEEEvT_T0_DpT1_.uses_vcc, 1
	.set _ZN2at6native12_GLOBAL__N_125multi_tensor_apply_kernelINS1_18TensorListMetadataILi3EEENS1_22TernaryOpScalarFunctorIfLi3ELi2ELi2EEEJNS0_11LerpFunctorIfEEfEEEvT_T0_DpT1_.uses_flat_scratch, 0
	.set _ZN2at6native12_GLOBAL__N_125multi_tensor_apply_kernelINS1_18TensorListMetadataILi3EEENS1_22TernaryOpScalarFunctorIfLi3ELi2ELi2EEEJNS0_11LerpFunctorIfEEfEEEvT_T0_DpT1_.has_dyn_sized_stack, 0
	.set _ZN2at6native12_GLOBAL__N_125multi_tensor_apply_kernelINS1_18TensorListMetadataILi3EEENS1_22TernaryOpScalarFunctorIfLi3ELi2ELi2EEEJNS0_11LerpFunctorIfEEfEEEvT_T0_DpT1_.has_recursion, 0
	.set _ZN2at6native12_GLOBAL__N_125multi_tensor_apply_kernelINS1_18TensorListMetadataILi3EEENS1_22TernaryOpScalarFunctorIfLi3ELi2ELi2EEEJNS0_11LerpFunctorIfEEfEEEvT_T0_DpT1_.has_indirect_call, 0
	.section	.AMDGPU.csdata,"",@progbits
; Kernel info:
; codeLenInByte = 1748
; TotalNumSgprs: 35
; NumVgprs: 44
; ScratchSize: 0
; MemoryBound: 0
; FloatMode: 240
; IeeeMode: 1
; LDSByteSize: 0 bytes/workgroup (compile time only)
; SGPRBlocks: 4
; VGPRBlocks: 10
; NumSGPRsForWavesPerEU: 35
; NumVGPRsForWavesPerEU: 44
; Occupancy: 5
; WaveLimiterHint : 0
; COMPUTE_PGM_RSRC2:SCRATCH_EN: 0
; COMPUTE_PGM_RSRC2:USER_SGPR: 6
; COMPUTE_PGM_RSRC2:TRAP_HANDLER: 0
; COMPUTE_PGM_RSRC2:TGID_X_EN: 1
; COMPUTE_PGM_RSRC2:TGID_Y_EN: 0
; COMPUTE_PGM_RSRC2:TGID_Z_EN: 0
; COMPUTE_PGM_RSRC2:TIDIG_COMP_CNT: 0
	.section	.text._ZN2at6native12_GLOBAL__N_125multi_tensor_apply_kernelINS1_18TensorListMetadataILi3EEENS1_22TernaryOpScalarFunctorIN3c107complexIdEELi3ELi2ELi2EEEJNS0_11LerpFunctorIS8_EES8_EEEvT_T0_DpT1_,"axG",@progbits,_ZN2at6native12_GLOBAL__N_125multi_tensor_apply_kernelINS1_18TensorListMetadataILi3EEENS1_22TernaryOpScalarFunctorIN3c107complexIdEELi3ELi2ELi2EEEJNS0_11LerpFunctorIS8_EES8_EEEvT_T0_DpT1_,comdat
	.globl	_ZN2at6native12_GLOBAL__N_125multi_tensor_apply_kernelINS1_18TensorListMetadataILi3EEENS1_22TernaryOpScalarFunctorIN3c107complexIdEELi3ELi2ELi2EEEJNS0_11LerpFunctorIS8_EES8_EEEvT_T0_DpT1_ ; -- Begin function _ZN2at6native12_GLOBAL__N_125multi_tensor_apply_kernelINS1_18TensorListMetadataILi3EEENS1_22TernaryOpScalarFunctorIN3c107complexIdEELi3ELi2ELi2EEEJNS0_11LerpFunctorIS8_EES8_EEEvT_T0_DpT1_
	.p2align	8
	.type	_ZN2at6native12_GLOBAL__N_125multi_tensor_apply_kernelINS1_18TensorListMetadataILi3EEENS1_22TernaryOpScalarFunctorIN3c107complexIdEELi3ELi2ELi2EEEJNS0_11LerpFunctorIS8_EES8_EEEvT_T0_DpT1_,@function
_ZN2at6native12_GLOBAL__N_125multi_tensor_apply_kernelINS1_18TensorListMetadataILi3EEENS1_22TernaryOpScalarFunctorIN3c107complexIdEELi3ELi2ELi2EEEJNS0_11LerpFunctorIS8_EES8_EEEvT_T0_DpT1_: ; @_ZN2at6native12_GLOBAL__N_125multi_tensor_apply_kernelINS1_18TensorListMetadataILi3EEENS1_22TernaryOpScalarFunctorIN3c107complexIdEELi3ELi2ELi2EEEJNS0_11LerpFunctorIS8_EES8_EEEvT_T0_DpT1_
; %bb.0:
	v_mov_b32_e32 v1, s6
	global_load_ubyte v1, v1, s[4:5] offset:1536
	s_add_u32 s0, s4, s6
	s_mul_hi_u32 s1, s6, 3
	s_mul_i32 s6, s6, 3
	s_addc_u32 s2, s5, 0
	s_add_u32 s0, s0, s6
	s_addc_u32 s1, s2, s1
	s_load_dword s2, s[0:1], 0x740
	s_load_dwordx4 s[12:15], s[4:5], 0xc50
	s_mov_b32 s1, 0
	s_mov_b32 s9, s1
	s_waitcnt lgkmcnt(0)
	s_ashr_i32 s3, s2, 31
	s_lshl_b64 s[10:11], s[2:3], 20
	s_waitcnt vmcnt(0)
	v_readfirstlane_b32 s0, v1
	s_lshl_b32 s0, s0, 3
	s_load_dwordx2 s[6:7], s[4:5], s0 offset:0x0
	s_load_dwordx2 s[18:19], s[4:5], s0 offset:0x180
	s_load_dwordx2 s[22:23], s[4:5], s0 offset:0x480
	s_load_dwordx2 s[20:21], s[4:5], s0 offset:0x300
	s_waitcnt lgkmcnt(0)
	s_add_u32 s16, s6, s10
	s_addc_u32 s17, s7, s11
	s_add_u32 s18, s18, s10
	s_addc_u32 s19, s19, s11
	s_add_u32 s20, s20, s10
	s_addc_u32 s21, s21, s11
	s_or_b32 s6, s20, s18
	s_lshl_b64 s[2:3], s[2:3], 16
	s_and_b32 s0, s16, 63
	s_and_b32 s6, s6, 63
	s_cmp_lg_u32 s6, 0
	s_cselect_b64 s[10:11], -1, 0
	s_sub_u32 s6, s22, s2
	s_subb_u32 s7, s23, s3
	s_and_b32 s8, s22, 3
	s_or_b64 s[0:1], s[0:1], s[8:9]
	s_cmp_lg_u64 s[0:1], 0
	s_cselect_b64 s[0:1], -1, 0
	s_or_b64 s[0:1], s[10:11], s[0:1]
	s_andn2_b64 vcc, exec, s[0:1]
	s_mov_b64 s[0:1], -1
	s_cbranch_vccz .LBB14_21
; %bb.1:
	v_mov_b32_e32 v1, 0x10000
	v_mov_b32_e32 v2, 0
	v_cmp_lt_i64_e32 vcc, s[6:7], v[1:2]
	v_mov_b32_e32 v2, 0
	s_and_b64 s[0:1], vcc, exec
	s_cselect_b32 s9, s7, 0
	s_cselect_b32 s8, s6, 0x10000
	v_lshlrev_b32_e32 v1, 2, v0
	v_cmp_gt_i64_e32 vcc, s[8:9], v[1:2]
	s_and_saveexec_b64 s[10:11], vcc
	s_cbranch_execz .LBB14_20
; %bb.2:
	v_mul_f64 v[3:4], s[14:15], s[14:15]
	s_mov_b32 s0, 0
	s_mov_b32 s1, 0x3fd00000
	v_add_f64 v[37:38], -s[12:13], 1.0
	v_add_f64 v[39:40], -s[14:15], 0
	s_load_dword s2, s[4:5], 0xc6c
	v_mov_b32_e32 v1, v2
	v_mov_b32_e32 v42, v1
	v_fma_f64 v[3:4], s[12:13], s[12:13], v[3:4]
	s_mov_b64 s[22:23], 0
	s_waitcnt lgkmcnt(0)
	s_and_b32 s33, s2, 0xffff
	v_lshlrev_b32_e32 v47, 6, v0
	s_lshl_b32 s34, s33, 6
	s_mov_b64 s[24:25], s[18:19]
	s_mov_b64 s[26:27], s[16:17]
	;; [unrolled: 1-line block ×3, first 2 shown]
	v_cmp_ngt_f64_e64 s[0:1], s[0:1], v[3:4]
	v_mov_b32_e32 v41, v0
	s_branch .LBB14_4
.LBB14_3:                               ;   in Loop: Header=BB14_4 Depth=1
	v_mov_b32_e32 v2, s29
	v_add_co_u32_e32 v1, vcc, s28, v47
	v_addc_co_u32_e32 v2, vcc, 0, v2, vcc
	v_add_co_u32_e32 v41, vcc, s33, v41
	s_add_u32 s28, s28, s34
	v_addc_co_u32_e32 v42, vcc, 0, v42, vcc
	s_addc_u32 s29, s29, 0
	v_lshlrev_b64 v[3:4], 2, v[41:42]
	s_add_u32 s26, s26, s34
	s_addc_u32 s27, s27, 0
	s_add_u32 s24, s24, s34
	v_cmp_le_i64_e32 vcc, s[8:9], v[3:4]
	s_addc_u32 s25, s25, 0
	s_or_b64 s[22:23], vcc, s[22:23]
	global_store_dwordx4 v[1:2], v[5:8], off
	global_store_dwordx4 v[1:2], v[17:20], off offset:16
	global_store_dwordx4 v[1:2], v[25:28], off offset:32
	;; [unrolled: 1-line block ×3, first 2 shown]
	s_andn2_b64 exec, exec, s[22:23]
	s_cbranch_execz .LBB14_20
.LBB14_4:                               ; =>This Inner Loop Header: Depth=1
	v_mov_b32_e32 v1, s27
	v_add_co_u32_e32 v5, vcc, s26, v47
	v_addc_co_u32_e32 v6, vcc, 0, v1, vcc
	v_mov_b32_e32 v1, s25
	v_add_co_u32_e32 v7, vcc, s24, v47
	v_addc_co_u32_e32 v8, vcc, 0, v1, vcc
	global_load_dwordx4 v[33:36], v[7:8], off
	global_load_dwordx4 v[17:20], v[5:6], off
	global_load_dwordx4 v[25:28], v[5:6], off offset:16
	global_load_dwordx4 v[1:4], v[5:6], off offset:48
	global_load_dwordx4 v[13:16], v[5:6], off offset:32
	global_load_dwordx4 v[29:32], v[7:8], off offset:16
	global_load_dwordx4 v[9:12], v[7:8], off offset:48
	global_load_dwordx4 v[21:24], v[7:8], off offset:32
	s_mov_b64 s[2:3], -1
	s_and_b64 vcc, exec, s[0:1]
                                        ; implicit-def: $vgpr7_vgpr8
	s_waitcnt vmcnt(6)
	v_add_f64 v[43:44], v[33:34], -v[17:18]
	v_add_f64 v[45:46], v[35:36], -v[19:20]
	s_cbranch_vccz .LBB14_6
; %bb.5:                                ;   in Loop: Header=BB14_4 Depth=1
	v_mul_f64 v[5:6], v[39:40], v[45:46]
	v_mul_f64 v[7:8], v[37:38], v[45:46]
	s_mov_b64 s[2:3], 0
	v_fma_f64 v[5:6], v[37:38], v[43:44], -v[5:6]
	v_fma_f64 v[7:8], v[39:40], v[43:44], v[7:8]
	v_add_f64 v[5:6], v[33:34], -v[5:6]
	v_add_f64 v[7:8], v[35:36], -v[7:8]
.LBB14_6:                               ;   in Loop: Header=BB14_4 Depth=1
	s_andn2_b64 vcc, exec, s[2:3]
	s_cbranch_vccnz .LBB14_8
; %bb.7:                                ;   in Loop: Header=BB14_4 Depth=1
	v_mul_f64 v[5:6], s[14:15], v[45:46]
	v_mul_f64 v[7:8], s[12:13], v[45:46]
	v_fma_f64 v[5:6], s[12:13], v[43:44], -v[5:6]
	v_fma_f64 v[7:8], s[14:15], v[43:44], v[7:8]
	v_add_f64 v[5:6], v[17:18], v[5:6]
	v_add_f64 v[7:8], v[19:20], v[7:8]
.LBB14_8:                               ;   in Loop: Header=BB14_4 Depth=1
	s_waitcnt vmcnt(2)
	v_add_f64 v[33:34], v[29:30], -v[25:26]
	v_add_f64 v[35:36], v[31:32], -v[27:28]
	v_cndmask_b32_e64 v17, 0, 1, s[0:1]
	v_cmp_ne_u32_e64 s[2:3], 1, v17
	s_andn2_b64 vcc, exec, s[0:1]
	s_mov_b64 s[30:31], -1
                                        ; implicit-def: $vgpr19_vgpr20
	s_cbranch_vccnz .LBB14_10
; %bb.9:                                ;   in Loop: Header=BB14_4 Depth=1
	v_mul_f64 v[17:18], v[39:40], v[35:36]
	v_mul_f64 v[19:20], v[37:38], v[35:36]
	s_mov_b64 s[30:31], 0
	v_fma_f64 v[17:18], v[37:38], v[33:34], -v[17:18]
	v_fma_f64 v[19:20], v[39:40], v[33:34], v[19:20]
	v_add_f64 v[17:18], v[29:30], -v[17:18]
	v_add_f64 v[19:20], v[31:32], -v[19:20]
.LBB14_10:                              ;   in Loop: Header=BB14_4 Depth=1
	s_andn2_b64 vcc, exec, s[30:31]
	s_cbranch_vccnz .LBB14_12
; %bb.11:                               ;   in Loop: Header=BB14_4 Depth=1
	v_mul_f64 v[17:18], s[14:15], v[35:36]
	v_mul_f64 v[19:20], s[12:13], v[35:36]
	v_fma_f64 v[17:18], s[12:13], v[33:34], -v[17:18]
	v_fma_f64 v[19:20], s[14:15], v[33:34], v[19:20]
	v_add_f64 v[17:18], v[25:26], v[17:18]
	v_add_f64 v[19:20], v[27:28], v[19:20]
.LBB14_12:                              ;   in Loop: Header=BB14_4 Depth=1
	s_waitcnt vmcnt(0)
	v_add_f64 v[29:30], v[21:22], -v[13:14]
	v_add_f64 v[31:32], v[23:24], -v[15:16]
	s_and_b64 vcc, exec, s[2:3]
	s_mov_b64 s[30:31], -1
                                        ; implicit-def: $vgpr27_vgpr28
	s_cbranch_vccnz .LBB14_14
; %bb.13:                               ;   in Loop: Header=BB14_4 Depth=1
	v_mul_f64 v[25:26], v[39:40], v[31:32]
	v_mul_f64 v[27:28], v[37:38], v[31:32]
	s_mov_b64 s[30:31], 0
	v_fma_f64 v[25:26], v[37:38], v[29:30], -v[25:26]
	v_fma_f64 v[27:28], v[39:40], v[29:30], v[27:28]
	v_add_f64 v[25:26], v[21:22], -v[25:26]
	v_add_f64 v[27:28], v[23:24], -v[27:28]
.LBB14_14:                              ;   in Loop: Header=BB14_4 Depth=1
	s_andn2_b64 vcc, exec, s[30:31]
	s_cbranch_vccnz .LBB14_16
; %bb.15:                               ;   in Loop: Header=BB14_4 Depth=1
	v_mul_f64 v[21:22], s[14:15], v[31:32]
	v_mul_f64 v[23:24], s[12:13], v[31:32]
	v_fma_f64 v[21:22], s[12:13], v[29:30], -v[21:22]
	v_fma_f64 v[23:24], s[14:15], v[29:30], v[23:24]
	v_add_f64 v[25:26], v[13:14], v[21:22]
	v_add_f64 v[27:28], v[15:16], v[23:24]
.LBB14_16:                              ;   in Loop: Header=BB14_4 Depth=1
	v_add_f64 v[21:22], v[9:10], -v[1:2]
	v_add_f64 v[23:24], v[11:12], -v[3:4]
	s_and_b64 vcc, exec, s[2:3]
	s_mov_b64 s[2:3], -1
                                        ; implicit-def: $vgpr15_vgpr16
	s_cbranch_vccnz .LBB14_18
; %bb.17:                               ;   in Loop: Header=BB14_4 Depth=1
	v_mul_f64 v[13:14], v[39:40], v[23:24]
	v_mul_f64 v[15:16], v[37:38], v[23:24]
	s_mov_b64 s[2:3], 0
	v_fma_f64 v[13:14], v[37:38], v[21:22], -v[13:14]
	v_fma_f64 v[15:16], v[39:40], v[21:22], v[15:16]
	v_add_f64 v[13:14], v[9:10], -v[13:14]
	v_add_f64 v[15:16], v[11:12], -v[15:16]
.LBB14_18:                              ;   in Loop: Header=BB14_4 Depth=1
	s_andn2_b64 vcc, exec, s[2:3]
	s_cbranch_vccnz .LBB14_3
; %bb.19:                               ;   in Loop: Header=BB14_4 Depth=1
	v_mul_f64 v[9:10], s[14:15], v[23:24]
	v_mul_f64 v[11:12], s[12:13], v[23:24]
	v_fma_f64 v[9:10], s[12:13], v[21:22], -v[9:10]
	v_fma_f64 v[11:12], s[14:15], v[21:22], v[11:12]
	v_add_f64 v[13:14], v[1:2], v[9:10]
	v_add_f64 v[15:16], v[3:4], v[11:12]
	s_branch .LBB14_3
.LBB14_20:
	s_or_b64 exec, exec, s[10:11]
	s_mov_b64 s[0:1], 0
.LBB14_21:
	s_andn2_b64 vcc, exec, s[0:1]
	s_cbranch_vccnz .LBB14_57
; %bb.22:
	v_cmp_lt_i64_e64 s[0:1], s[6:7], 1
	s_and_b64 vcc, exec, s[0:1]
	s_cbranch_vccnz .LBB14_57
; %bb.23:
	v_mul_f64 v[1:2], s[14:15], s[14:15]
	s_mov_b32 s0, 0
	s_mov_b32 s1, 0x3fd00000
	v_mov_b32_e32 v3, 0x10000
	s_load_dword s8, s[4:5], 0xc6c
	v_add_f64 v[37:38], -s[12:13], 1.0
	v_add_f64 v[39:40], -s[14:15], 0
	v_mov_b32_e32 v4, 0
	v_fma_f64 v[1:2], s[12:13], s[12:13], v[1:2]
	v_cmp_lt_i64_e32 vcc, s[6:7], v[3:4]
	v_cmp_lt_u64_e64 s[2:3], s[6:7], v[3:4]
	s_and_b64 s[4:5], vcc, exec
	s_cselect_b32 s23, s7, 0
	s_cselect_b32 s22, s6, 0x10000
	s_waitcnt lgkmcnt(0)
	s_and_b32 s30, s8, 0xffff
	s_and_b64 s[2:3], s[2:3], exec
	v_cmp_ngt_f64_e64 s[0:1], s[0:1], v[1:2]
	s_cselect_b32 s25, s7, 0
	s_cselect_b32 s24, s6, 0x10000
	s_lshl_b32 s31, s30, 1
	s_mul_i32 s33, s30, 3
	s_mov_b64 s[26:27], 0
	s_lshl_b32 s34, s30, 2
	s_branch .LBB14_25
.LBB14_24:                              ;   in Loop: Header=BB14_25 Depth=1
	s_or_b64 exec, exec, s[2:3]
	s_add_u32 s26, s26, s34
	v_mov_b32_e32 v1, s22
	s_addc_u32 s27, s27, 0
	v_mov_b32_e32 v2, s23
	v_cmp_ge_i64_e32 vcc, s[26:27], v[1:2]
	s_cbranch_vccnz .LBB14_57
.LBB14_25:                              ; =>This Inner Loop Header: Depth=1
	v_mov_b32_e32 v1, s27
	v_add_co_u32_e32 v41, vcc, s26, v0
	v_addc_co_u32_e32 v42, vcc, 0, v1, vcc
	v_cmp_gt_u64_e64 s[2:3], s[24:25], v[41:42]
	v_mov_b32_e32 v3, 0
	v_mov_b32_e32 v27, 0
	;; [unrolled: 1-line block ×10, first 2 shown]
	s_and_saveexec_b64 s[4:5], s[2:3]
	s_cbranch_execz .LBB14_27
; %bb.26:                               ;   in Loop: Header=BB14_25 Depth=1
	v_lshlrev_b64 v[1:2], 4, v[41:42]
	v_mov_b32_e32 v6, s19
	v_add_co_u32_e32 v5, vcc, s18, v1
	v_addc_co_u32_e32 v6, vcc, v6, v2, vcc
	v_mov_b32_e32 v7, s17
	v_add_co_u32_e32 v1, vcc, s16, v1
	v_addc_co_u32_e32 v2, vcc, v7, v2, vcc
	global_load_dwordx4 v[9:12], v[1:2], off
	global_load_dwordx4 v[25:28], v[5:6], off
.LBB14_27:                              ;   in Loop: Header=BB14_25 Depth=1
	s_or_b64 exec, exec, s[4:5]
	v_add_co_u32_e32 v43, vcc, s30, v41
	v_addc_co_u32_e32 v44, vcc, 0, v42, vcc
	v_cmp_gt_u64_e64 s[4:5], s[24:25], v[43:44]
	v_mov_b32_e32 v1, 0
	v_mov_b32_e32 v15, 0
	;; [unrolled: 1-line block ×6, first 2 shown]
	s_and_saveexec_b64 s[6:7], s[4:5]
	s_cbranch_execz .LBB14_29
; %bb.28:                               ;   in Loop: Header=BB14_25 Depth=1
	v_lshlrev_b64 v[1:2], 4, v[43:44]
	v_mov_b32_e32 v3, s19
	v_add_co_u32_e32 v5, vcc, s18, v1
	v_addc_co_u32_e32 v6, vcc, v3, v2, vcc
	v_mov_b32_e32 v3, s17
	v_add_co_u32_e32 v7, vcc, s16, v1
	v_addc_co_u32_e32 v8, vcc, v3, v2, vcc
	global_load_dwordx4 v[13:16], v[7:8], off
	global_load_dwordx4 v[1:4], v[5:6], off
.LBB14_29:                              ;   in Loop: Header=BB14_25 Depth=1
	s_or_b64 exec, exec, s[6:7]
	v_add_co_u32_e32 v45, vcc, s31, v41
	v_addc_co_u32_e32 v46, vcc, 0, v42, vcc
	v_cmp_gt_u64_e64 s[6:7], s[24:25], v[45:46]
	v_mov_b32_e32 v7, 0
	v_mov_b32_e32 v31, 0
	;; [unrolled: 1-line block ×10, first 2 shown]
	s_and_saveexec_b64 s[8:9], s[6:7]
	s_cbranch_execz .LBB14_31
; %bb.30:                               ;   in Loop: Header=BB14_25 Depth=1
	v_lshlrev_b64 v[5:6], 4, v[45:46]
	v_mov_b32_e32 v17, s19
	v_add_co_u32_e32 v21, vcc, s18, v5
	v_addc_co_u32_e32 v22, vcc, v17, v6, vcc
	v_mov_b32_e32 v17, s17
	v_add_co_u32_e32 v5, vcc, s16, v5
	v_addc_co_u32_e32 v6, vcc, v17, v6, vcc
	global_load_dwordx4 v[17:20], v[5:6], off
	global_load_dwordx4 v[29:32], v[21:22], off
.LBB14_31:                              ;   in Loop: Header=BB14_25 Depth=1
	s_or_b64 exec, exec, s[8:9]
	v_add_co_u32_e32 v47, vcc, s33, v41
	v_addc_co_u32_e32 v48, vcc, 0, v42, vcc
	v_cmp_gt_u64_e64 s[8:9], s[24:25], v[47:48]
	v_mov_b32_e32 v5, 0
	v_mov_b32_e32 v23, 0
	;; [unrolled: 1-line block ×6, first 2 shown]
	s_and_saveexec_b64 s[10:11], s[8:9]
	s_cbranch_execz .LBB14_33
; %bb.32:                               ;   in Loop: Header=BB14_25 Depth=1
	v_lshlrev_b64 v[5:6], 4, v[47:48]
	v_mov_b32_e32 v7, s19
	v_add_co_u32_e32 v33, vcc, s18, v5
	v_addc_co_u32_e32 v34, vcc, v7, v6, vcc
	v_mov_b32_e32 v7, s17
	v_add_co_u32_e32 v35, vcc, s16, v5
	v_addc_co_u32_e32 v36, vcc, v7, v6, vcc
	global_load_dwordx4 v[21:24], v[35:36], off
	global_load_dwordx4 v[5:8], v[33:34], off
.LBB14_33:                              ;   in Loop: Header=BB14_25 Depth=1
	s_or_b64 exec, exec, s[10:11]
	s_waitcnt vmcnt(0)
	v_add_f64 v[49:50], v[25:26], -v[9:10]
	v_add_f64 v[51:52], v[27:28], -v[11:12]
	s_mov_b64 s[10:11], -1
	s_and_b64 vcc, exec, s[0:1]
                                        ; implicit-def: $vgpr35_vgpr36
	s_cbranch_vccz .LBB14_35
; %bb.34:                               ;   in Loop: Header=BB14_25 Depth=1
	v_mul_f64 v[33:34], v[39:40], v[51:52]
	v_mul_f64 v[35:36], v[39:40], v[49:50]
	s_mov_b64 s[10:11], 0
	v_fma_f64 v[33:34], v[37:38], v[49:50], -v[33:34]
	v_fma_f64 v[35:36], v[37:38], v[51:52], v[35:36]
	v_add_f64 v[33:34], v[25:26], -v[33:34]
	v_add_f64 v[35:36], v[27:28], -v[35:36]
.LBB14_35:                              ;   in Loop: Header=BB14_25 Depth=1
	s_andn2_b64 vcc, exec, s[10:11]
	s_cbranch_vccnz .LBB14_37
; %bb.36:                               ;   in Loop: Header=BB14_25 Depth=1
	v_mul_f64 v[25:26], s[14:15], v[51:52]
	v_mul_f64 v[27:28], s[14:15], v[49:50]
	v_fma_f64 v[25:26], s[12:13], v[49:50], -v[25:26]
	v_fma_f64 v[27:28], s[12:13], v[51:52], v[27:28]
	v_add_f64 v[33:34], v[9:10], v[25:26]
	v_add_f64 v[35:36], v[11:12], v[27:28]
.LBB14_37:                              ;   in Loop: Header=BB14_25 Depth=1
	v_add_f64 v[25:26], v[1:2], -v[13:14]
	v_add_f64 v[27:28], v[3:4], -v[15:16]
	v_cndmask_b32_e64 v9, 0, 1, s[0:1]
	v_cmp_ne_u32_e64 s[10:11], 1, v9
	s_andn2_b64 vcc, exec, s[0:1]
	s_mov_b64 s[28:29], -1
                                        ; implicit-def: $vgpr11_vgpr12
	s_cbranch_vccnz .LBB14_39
; %bb.38:                               ;   in Loop: Header=BB14_25 Depth=1
	v_mul_f64 v[9:10], v[39:40], v[27:28]
	v_mul_f64 v[11:12], v[39:40], v[25:26]
	s_mov_b64 s[28:29], 0
	v_fma_f64 v[9:10], v[37:38], v[25:26], -v[9:10]
	v_fma_f64 v[11:12], v[37:38], v[27:28], v[11:12]
	v_add_f64 v[9:10], v[1:2], -v[9:10]
	v_add_f64 v[11:12], v[3:4], -v[11:12]
.LBB14_39:                              ;   in Loop: Header=BB14_25 Depth=1
	s_andn2_b64 vcc, exec, s[28:29]
	s_cbranch_vccnz .LBB14_41
; %bb.40:                               ;   in Loop: Header=BB14_25 Depth=1
	v_mul_f64 v[1:2], s[14:15], v[27:28]
	v_mul_f64 v[3:4], s[14:15], v[25:26]
	v_fma_f64 v[1:2], s[12:13], v[25:26], -v[1:2]
	v_fma_f64 v[3:4], s[12:13], v[27:28], v[3:4]
	v_add_f64 v[9:10], v[13:14], v[1:2]
	v_add_f64 v[11:12], v[15:16], v[3:4]
.LBB14_41:                              ;   in Loop: Header=BB14_25 Depth=1
	v_add_f64 v[13:14], v[29:30], -v[17:18]
	v_add_f64 v[15:16], v[31:32], -v[19:20]
	s_and_b64 vcc, exec, s[10:11]
	s_mov_b64 s[28:29], -1
                                        ; implicit-def: $vgpr3_vgpr4
	s_cbranch_vccnz .LBB14_43
; %bb.42:                               ;   in Loop: Header=BB14_25 Depth=1
	v_mul_f64 v[1:2], v[39:40], v[15:16]
	v_mul_f64 v[3:4], v[39:40], v[13:14]
	s_mov_b64 s[28:29], 0
	v_fma_f64 v[1:2], v[37:38], v[13:14], -v[1:2]
	v_fma_f64 v[3:4], v[37:38], v[15:16], v[3:4]
	v_add_f64 v[1:2], v[29:30], -v[1:2]
	v_add_f64 v[3:4], v[31:32], -v[3:4]
.LBB14_43:                              ;   in Loop: Header=BB14_25 Depth=1
	s_andn2_b64 vcc, exec, s[28:29]
	s_cbranch_vccnz .LBB14_45
; %bb.44:                               ;   in Loop: Header=BB14_25 Depth=1
	v_mul_f64 v[1:2], s[14:15], v[15:16]
	v_mul_f64 v[3:4], s[14:15], v[13:14]
	v_fma_f64 v[1:2], s[12:13], v[13:14], -v[1:2]
	v_fma_f64 v[3:4], s[12:13], v[15:16], v[3:4]
	v_add_f64 v[1:2], v[17:18], v[1:2]
	v_add_f64 v[3:4], v[19:20], v[3:4]
.LBB14_45:                              ;   in Loop: Header=BB14_25 Depth=1
	v_add_f64 v[17:18], v[5:6], -v[21:22]
	v_add_f64 v[19:20], v[7:8], -v[23:24]
	s_and_b64 vcc, exec, s[10:11]
	s_mov_b64 s[10:11], -1
                                        ; implicit-def: $vgpr15_vgpr16
	s_cbranch_vccz .LBB14_51
; %bb.46:                               ;   in Loop: Header=BB14_25 Depth=1
	s_andn2_b64 vcc, exec, s[10:11]
	s_cbranch_vccz .LBB14_52
.LBB14_47:                              ;   in Loop: Header=BB14_25 Depth=1
	s_and_saveexec_b64 s[10:11], s[2:3]
	s_xor_b64 s[2:3], exec, s[10:11]
	s_cbranch_execnz .LBB14_53
.LBB14_48:                              ;   in Loop: Header=BB14_25 Depth=1
	s_or_b64 exec, exec, s[2:3]
	s_and_saveexec_b64 s[2:3], s[4:5]
	s_cbranch_execnz .LBB14_54
.LBB14_49:                              ;   in Loop: Header=BB14_25 Depth=1
	s_or_b64 exec, exec, s[2:3]
	s_and_saveexec_b64 s[2:3], s[6:7]
	s_cbranch_execnz .LBB14_55
.LBB14_50:                              ;   in Loop: Header=BB14_25 Depth=1
	s_or_b64 exec, exec, s[2:3]
	s_and_saveexec_b64 s[2:3], s[8:9]
	s_cbranch_execz .LBB14_24
	s_branch .LBB14_56
.LBB14_51:                              ;   in Loop: Header=BB14_25 Depth=1
	v_mul_f64 v[13:14], v[39:40], v[19:20]
	v_mul_f64 v[15:16], v[39:40], v[17:18]
	v_fma_f64 v[13:14], v[37:38], v[17:18], -v[13:14]
	v_fma_f64 v[15:16], v[37:38], v[19:20], v[15:16]
	v_add_f64 v[13:14], v[5:6], -v[13:14]
	v_add_f64 v[15:16], v[7:8], -v[15:16]
	s_cbranch_execnz .LBB14_47
.LBB14_52:                              ;   in Loop: Header=BB14_25 Depth=1
	v_mul_f64 v[5:6], s[14:15], v[19:20]
	v_mul_f64 v[7:8], s[14:15], v[17:18]
	v_fma_f64 v[5:6], s[12:13], v[17:18], -v[5:6]
	v_fma_f64 v[7:8], s[12:13], v[19:20], v[7:8]
	v_add_f64 v[13:14], v[21:22], v[5:6]
	v_add_f64 v[15:16], v[23:24], v[7:8]
	s_and_saveexec_b64 s[10:11], s[2:3]
	s_xor_b64 s[2:3], exec, s[10:11]
	s_cbranch_execz .LBB14_48
.LBB14_53:                              ;   in Loop: Header=BB14_25 Depth=1
	v_lshlrev_b64 v[5:6], 4, v[41:42]
	v_mov_b32_e32 v7, s21
	v_add_co_u32_e32 v5, vcc, s20, v5
	v_addc_co_u32_e32 v6, vcc, v7, v6, vcc
	global_store_dwordx4 v[5:6], v[33:36], off
	s_or_b64 exec, exec, s[2:3]
	s_and_saveexec_b64 s[2:3], s[4:5]
	s_cbranch_execz .LBB14_49
.LBB14_54:                              ;   in Loop: Header=BB14_25 Depth=1
	v_lshlrev_b64 v[5:6], 4, v[43:44]
	v_mov_b32_e32 v7, s21
	v_add_co_u32_e32 v5, vcc, s20, v5
	v_addc_co_u32_e32 v6, vcc, v7, v6, vcc
	global_store_dwordx4 v[5:6], v[9:12], off
	s_or_b64 exec, exec, s[2:3]
	s_and_saveexec_b64 s[2:3], s[6:7]
	s_cbranch_execz .LBB14_50
.LBB14_55:                              ;   in Loop: Header=BB14_25 Depth=1
	v_lshlrev_b64 v[5:6], 4, v[45:46]
	v_mov_b32_e32 v7, s21
	v_add_co_u32_e32 v5, vcc, s20, v5
	v_addc_co_u32_e32 v6, vcc, v7, v6, vcc
	global_store_dwordx4 v[5:6], v[1:4], off
	s_or_b64 exec, exec, s[2:3]
	s_and_saveexec_b64 s[2:3], s[8:9]
	s_cbranch_execz .LBB14_24
.LBB14_56:                              ;   in Loop: Header=BB14_25 Depth=1
	v_lshlrev_b64 v[1:2], 4, v[47:48]
	v_mov_b32_e32 v3, s21
	v_add_co_u32_e32 v1, vcc, s20, v1
	v_addc_co_u32_e32 v2, vcc, v3, v2, vcc
	global_store_dwordx4 v[1:2], v[13:16], off
	s_branch .LBB14_24
.LBB14_57:
	s_endpgm
	.section	.rodata,"a",@progbits
	.p2align	6, 0x0
	.amdhsa_kernel _ZN2at6native12_GLOBAL__N_125multi_tensor_apply_kernelINS1_18TensorListMetadataILi3EEENS1_22TernaryOpScalarFunctorIN3c107complexIdEELi3ELi2ELi2EEEJNS0_11LerpFunctorIS8_EES8_EEEvT_T0_DpT1_
		.amdhsa_group_segment_fixed_size 0
		.amdhsa_private_segment_fixed_size 0
		.amdhsa_kernarg_size 3424
		.amdhsa_user_sgpr_count 6
		.amdhsa_user_sgpr_private_segment_buffer 1
		.amdhsa_user_sgpr_dispatch_ptr 0
		.amdhsa_user_sgpr_queue_ptr 0
		.amdhsa_user_sgpr_kernarg_segment_ptr 1
		.amdhsa_user_sgpr_dispatch_id 0
		.amdhsa_user_sgpr_flat_scratch_init 0
		.amdhsa_user_sgpr_private_segment_size 0
		.amdhsa_uses_dynamic_stack 0
		.amdhsa_system_sgpr_private_segment_wavefront_offset 0
		.amdhsa_system_sgpr_workgroup_id_x 1
		.amdhsa_system_sgpr_workgroup_id_y 0
		.amdhsa_system_sgpr_workgroup_id_z 0
		.amdhsa_system_sgpr_workgroup_info 0
		.amdhsa_system_vgpr_workitem_id 0
		.amdhsa_next_free_vgpr 53
		.amdhsa_next_free_sgpr 35
		.amdhsa_reserve_vcc 1
		.amdhsa_reserve_flat_scratch 0
		.amdhsa_float_round_mode_32 0
		.amdhsa_float_round_mode_16_64 0
		.amdhsa_float_denorm_mode_32 3
		.amdhsa_float_denorm_mode_16_64 3
		.amdhsa_dx10_clamp 1
		.amdhsa_ieee_mode 1
		.amdhsa_fp16_overflow 0
		.amdhsa_exception_fp_ieee_invalid_op 0
		.amdhsa_exception_fp_denorm_src 0
		.amdhsa_exception_fp_ieee_div_zero 0
		.amdhsa_exception_fp_ieee_overflow 0
		.amdhsa_exception_fp_ieee_underflow 0
		.amdhsa_exception_fp_ieee_inexact 0
		.amdhsa_exception_int_div_zero 0
	.end_amdhsa_kernel
	.section	.text._ZN2at6native12_GLOBAL__N_125multi_tensor_apply_kernelINS1_18TensorListMetadataILi3EEENS1_22TernaryOpScalarFunctorIN3c107complexIdEELi3ELi2ELi2EEEJNS0_11LerpFunctorIS8_EES8_EEEvT_T0_DpT1_,"axG",@progbits,_ZN2at6native12_GLOBAL__N_125multi_tensor_apply_kernelINS1_18TensorListMetadataILi3EEENS1_22TernaryOpScalarFunctorIN3c107complexIdEELi3ELi2ELi2EEEJNS0_11LerpFunctorIS8_EES8_EEEvT_T0_DpT1_,comdat
.Lfunc_end14:
	.size	_ZN2at6native12_GLOBAL__N_125multi_tensor_apply_kernelINS1_18TensorListMetadataILi3EEENS1_22TernaryOpScalarFunctorIN3c107complexIdEELi3ELi2ELi2EEEJNS0_11LerpFunctorIS8_EES8_EEEvT_T0_DpT1_, .Lfunc_end14-_ZN2at6native12_GLOBAL__N_125multi_tensor_apply_kernelINS1_18TensorListMetadataILi3EEENS1_22TernaryOpScalarFunctorIN3c107complexIdEELi3ELi2ELi2EEEJNS0_11LerpFunctorIS8_EES8_EEEvT_T0_DpT1_
                                        ; -- End function
	.set _ZN2at6native12_GLOBAL__N_125multi_tensor_apply_kernelINS1_18TensorListMetadataILi3EEENS1_22TernaryOpScalarFunctorIN3c107complexIdEELi3ELi2ELi2EEEJNS0_11LerpFunctorIS8_EES8_EEEvT_T0_DpT1_.num_vgpr, 53
	.set _ZN2at6native12_GLOBAL__N_125multi_tensor_apply_kernelINS1_18TensorListMetadataILi3EEENS1_22TernaryOpScalarFunctorIN3c107complexIdEELi3ELi2ELi2EEEJNS0_11LerpFunctorIS8_EES8_EEEvT_T0_DpT1_.num_agpr, 0
	.set _ZN2at6native12_GLOBAL__N_125multi_tensor_apply_kernelINS1_18TensorListMetadataILi3EEENS1_22TernaryOpScalarFunctorIN3c107complexIdEELi3ELi2ELi2EEEJNS0_11LerpFunctorIS8_EES8_EEEvT_T0_DpT1_.numbered_sgpr, 35
	.set _ZN2at6native12_GLOBAL__N_125multi_tensor_apply_kernelINS1_18TensorListMetadataILi3EEENS1_22TernaryOpScalarFunctorIN3c107complexIdEELi3ELi2ELi2EEEJNS0_11LerpFunctorIS8_EES8_EEEvT_T0_DpT1_.num_named_barrier, 0
	.set _ZN2at6native12_GLOBAL__N_125multi_tensor_apply_kernelINS1_18TensorListMetadataILi3EEENS1_22TernaryOpScalarFunctorIN3c107complexIdEELi3ELi2ELi2EEEJNS0_11LerpFunctorIS8_EES8_EEEvT_T0_DpT1_.private_seg_size, 0
	.set _ZN2at6native12_GLOBAL__N_125multi_tensor_apply_kernelINS1_18TensorListMetadataILi3EEENS1_22TernaryOpScalarFunctorIN3c107complexIdEELi3ELi2ELi2EEEJNS0_11LerpFunctorIS8_EES8_EEEvT_T0_DpT1_.uses_vcc, 1
	.set _ZN2at6native12_GLOBAL__N_125multi_tensor_apply_kernelINS1_18TensorListMetadataILi3EEENS1_22TernaryOpScalarFunctorIN3c107complexIdEELi3ELi2ELi2EEEJNS0_11LerpFunctorIS8_EES8_EEEvT_T0_DpT1_.uses_flat_scratch, 0
	.set _ZN2at6native12_GLOBAL__N_125multi_tensor_apply_kernelINS1_18TensorListMetadataILi3EEENS1_22TernaryOpScalarFunctorIN3c107complexIdEELi3ELi2ELi2EEEJNS0_11LerpFunctorIS8_EES8_EEEvT_T0_DpT1_.has_dyn_sized_stack, 0
	.set _ZN2at6native12_GLOBAL__N_125multi_tensor_apply_kernelINS1_18TensorListMetadataILi3EEENS1_22TernaryOpScalarFunctorIN3c107complexIdEELi3ELi2ELi2EEEJNS0_11LerpFunctorIS8_EES8_EEEvT_T0_DpT1_.has_recursion, 0
	.set _ZN2at6native12_GLOBAL__N_125multi_tensor_apply_kernelINS1_18TensorListMetadataILi3EEENS1_22TernaryOpScalarFunctorIN3c107complexIdEELi3ELi2ELi2EEEJNS0_11LerpFunctorIS8_EES8_EEEvT_T0_DpT1_.has_indirect_call, 0
	.section	.AMDGPU.csdata,"",@progbits
; Kernel info:
; codeLenInByte = 2564
; TotalNumSgprs: 39
; NumVgprs: 53
; ScratchSize: 0
; MemoryBound: 1
; FloatMode: 240
; IeeeMode: 1
; LDSByteSize: 0 bytes/workgroup (compile time only)
; SGPRBlocks: 4
; VGPRBlocks: 13
; NumSGPRsForWavesPerEU: 39
; NumVGPRsForWavesPerEU: 53
; Occupancy: 4
; WaveLimiterHint : 0
; COMPUTE_PGM_RSRC2:SCRATCH_EN: 0
; COMPUTE_PGM_RSRC2:USER_SGPR: 6
; COMPUTE_PGM_RSRC2:TRAP_HANDLER: 0
; COMPUTE_PGM_RSRC2:TGID_X_EN: 1
; COMPUTE_PGM_RSRC2:TGID_Y_EN: 0
; COMPUTE_PGM_RSRC2:TGID_Z_EN: 0
; COMPUTE_PGM_RSRC2:TIDIG_COMP_CNT: 0
	.section	.text._ZN2at6native12_GLOBAL__N_125multi_tensor_apply_kernelINS1_18TensorListMetadataILi3EEENS1_22TernaryOpScalarFunctorIN3c107complexIfEELi3ELi2ELi2EEEJNS0_11LerpFunctorIS8_EES8_EEEvT_T0_DpT1_,"axG",@progbits,_ZN2at6native12_GLOBAL__N_125multi_tensor_apply_kernelINS1_18TensorListMetadataILi3EEENS1_22TernaryOpScalarFunctorIN3c107complexIfEELi3ELi2ELi2EEEJNS0_11LerpFunctorIS8_EES8_EEEvT_T0_DpT1_,comdat
	.globl	_ZN2at6native12_GLOBAL__N_125multi_tensor_apply_kernelINS1_18TensorListMetadataILi3EEENS1_22TernaryOpScalarFunctorIN3c107complexIfEELi3ELi2ELi2EEEJNS0_11LerpFunctorIS8_EES8_EEEvT_T0_DpT1_ ; -- Begin function _ZN2at6native12_GLOBAL__N_125multi_tensor_apply_kernelINS1_18TensorListMetadataILi3EEENS1_22TernaryOpScalarFunctorIN3c107complexIfEELi3ELi2ELi2EEEJNS0_11LerpFunctorIS8_EES8_EEEvT_T0_DpT1_
	.p2align	8
	.type	_ZN2at6native12_GLOBAL__N_125multi_tensor_apply_kernelINS1_18TensorListMetadataILi3EEENS1_22TernaryOpScalarFunctorIN3c107complexIfEELi3ELi2ELi2EEEJNS0_11LerpFunctorIS8_EES8_EEEvT_T0_DpT1_,@function
_ZN2at6native12_GLOBAL__N_125multi_tensor_apply_kernelINS1_18TensorListMetadataILi3EEENS1_22TernaryOpScalarFunctorIN3c107complexIfEELi3ELi2ELi2EEEJNS0_11LerpFunctorIS8_EES8_EEEvT_T0_DpT1_: ; @_ZN2at6native12_GLOBAL__N_125multi_tensor_apply_kernelINS1_18TensorListMetadataILi3EEENS1_22TernaryOpScalarFunctorIN3c107complexIfEELi3ELi2ELi2EEEJNS0_11LerpFunctorIS8_EES8_EEEvT_T0_DpT1_
; %bb.0:
	v_mov_b32_e32 v1, s6
	global_load_ubyte v1, v1, s[4:5] offset:1536
	s_add_u32 s0, s4, s6
	s_mul_hi_u32 s1, s6, 3
	s_mul_i32 s6, s6, 3
	s_addc_u32 s2, s5, 0
	s_add_u32 s0, s0, s6
	s_addc_u32 s1, s2, s1
	s_load_dword s2, s[0:1], 0x740
	s_load_dwordx2 s[12:13], s[4:5], 0xc50
	s_mov_b32 s1, 0
	s_mov_b32 s9, s1
	s_waitcnt lgkmcnt(0)
	s_ashr_i32 s3, s2, 31
	s_lshl_b64 s[10:11], s[2:3], 19
	s_waitcnt vmcnt(0)
	v_readfirstlane_b32 s0, v1
	s_lshl_b32 s0, s0, 3
	s_load_dwordx2 s[6:7], s[4:5], s0 offset:0x0
	s_load_dwordx2 s[16:17], s[4:5], s0 offset:0x180
	;; [unrolled: 1-line block ×4, first 2 shown]
	s_waitcnt lgkmcnt(0)
	s_add_u32 s14, s6, s10
	s_addc_u32 s15, s7, s11
	s_add_u32 s16, s16, s10
	s_addc_u32 s17, s17, s11
	;; [unrolled: 2-line block ×3, first 2 shown]
	s_or_b32 s6, s18, s16
	s_lshl_b64 s[2:3], s[2:3], 16
	s_and_b32 s0, s14, 31
	s_and_b32 s6, s6, 31
	s_cmp_lg_u32 s6, 0
	s_cselect_b64 s[10:11], -1, 0
	s_sub_u32 s6, s20, s2
	s_subb_u32 s7, s21, s3
	s_and_b32 s8, s20, 3
	s_or_b64 s[0:1], s[0:1], s[8:9]
	s_cmp_lg_u64 s[0:1], 0
	s_cselect_b64 s[0:1], -1, 0
	s_or_b64 s[0:1], s[10:11], s[0:1]
	s_andn2_b64 vcc, exec, s[0:1]
	s_mov_b64 s[0:1], -1
	s_cbranch_vccz .LBB15_21
; %bb.1:
	v_mov_b32_e32 v1, 0x10000
	v_mov_b32_e32 v2, 0
	v_cmp_lt_i64_e32 vcc, s[6:7], v[1:2]
	v_mov_b32_e32 v2, 0
	s_and_b64 s[0:1], vcc, exec
	s_cselect_b32 s9, s7, 0
	s_cselect_b32 s8, s6, 0x10000
	v_lshlrev_b32_e32 v1, 2, v0
	v_cmp_gt_i64_e32 vcc, s[8:9], v[1:2]
	s_and_saveexec_b64 s[10:11], vcc
	s_cbranch_execz .LBB15_20
; %bb.2:
	s_load_dword s2, s[4:5], 0xc64
	v_mov_b32_e32 v1, v2
	v_mul_f32_e64 v2, s13, s13
	v_fmac_f32_e64 v2, s12, s12
	s_mov_b32 s0, 0x3e800000
	s_waitcnt lgkmcnt(0)
	s_and_b32 s30, s2, 0xffff
	v_mov_b32_e32 v22, v1
	v_cmp_ngt_f32_e64 s[0:1], s0, v2
	v_sub_f32_e64 v23, 1.0, s12
	v_sub_f32_e64 v24, 0, s13
	v_lshlrev_b32_e32 v25, 5, v0
	s_lshl_b32 s31, s30, 5
	s_mov_b64 s[20:21], 0
	s_mov_b64 s[22:23], s[16:17]
	s_mov_b64 s[24:25], s[14:15]
	s_mov_b64 s[26:27], s[18:19]
	v_mov_b32_e32 v21, v0
	s_branch .LBB15_4
.LBB15_3:                               ;   in Loop: Header=BB15_4 Depth=1
	v_mov_b32_e32 v2, s27
	v_add_co_u32_e32 v1, vcc, s26, v25
	v_addc_co_u32_e32 v2, vcc, 0, v2, vcc
	v_add_co_u32_e32 v21, vcc, s30, v21
	s_add_u32 s26, s26, s31
	v_addc_co_u32_e32 v22, vcc, 0, v22, vcc
	s_addc_u32 s27, s27, 0
	v_lshlrev_b64 v[3:4], 2, v[21:22]
	s_add_u32 s24, s24, s31
	s_addc_u32 s25, s25, 0
	s_add_u32 s22, s22, s31
	v_cmp_le_i64_e32 vcc, s[8:9], v[3:4]
	s_addc_u32 s23, s23, 0
	s_or_b64 s[20:21], vcc, s[20:21]
	global_store_dwordx4 v[1:2], v[5:8], off
	global_store_dwordx4 v[1:2], v[13:16], off offset:16
	s_andn2_b64 exec, exec, s[20:21]
	s_cbranch_execz .LBB15_20
.LBB15_4:                               ; =>This Inner Loop Header: Depth=1
	v_mov_b32_e32 v1, s25
	v_add_co_u32_e32 v5, vcc, s24, v25
	v_addc_co_u32_e32 v6, vcc, 0, v1, vcc
	v_mov_b32_e32 v1, s23
	v_add_co_u32_e32 v7, vcc, s22, v25
	v_addc_co_u32_e32 v8, vcc, 0, v1, vcc
	global_load_dwordx4 v[17:20], v[7:8], off
	global_load_dwordx4 v[13:16], v[5:6], off
	global_load_dwordx4 v[1:4], v[5:6], off offset:16
	global_load_dwordx4 v[9:12], v[7:8], off offset:16
	s_mov_b64 s[2:3], -1
	s_and_b64 vcc, exec, s[0:1]
                                        ; implicit-def: $vgpr6
	s_waitcnt vmcnt(2)
	v_sub_f32_e32 v7, v17, v13
	v_sub_f32_e32 v8, v18, v14
	s_cbranch_vccz .LBB15_6
; %bb.5:                                ;   in Loop: Header=BB15_4 Depth=1
	v_mul_f32_e32 v5, v24, v8
	v_mul_f32_e32 v6, v23, v8
	v_fma_f32 v5, v23, v7, -v5
	v_fmac_f32_e32 v6, v24, v7
	v_sub_f32_e32 v5, v17, v5
	v_sub_f32_e32 v6, v18, v6
	s_mov_b64 s[2:3], 0
.LBB15_6:                               ;   in Loop: Header=BB15_4 Depth=1
	s_andn2_b64 vcc, exec, s[2:3]
	s_cbranch_vccnz .LBB15_8
; %bb.7:                                ;   in Loop: Header=BB15_4 Depth=1
	v_mul_f32_e32 v5, s13, v8
	v_mul_f32_e32 v6, s12, v8
	v_fma_f32 v5, v7, s12, -v5
	v_fmac_f32_e32 v6, s13, v7
	v_add_f32_e32 v5, v13, v5
	v_add_f32_e32 v6, v14, v6
.LBB15_8:                               ;   in Loop: Header=BB15_4 Depth=1
	v_cndmask_b32_e64 v7, 0, 1, s[0:1]
	v_sub_f32_e32 v13, v19, v15
	v_sub_f32_e32 v14, v20, v16
	v_cmp_ne_u32_e64 s[2:3], 1, v7
	s_andn2_b64 vcc, exec, s[0:1]
	s_mov_b64 s[28:29], -1
	s_cbranch_vccnz .LBB15_10
; %bb.9:                                ;   in Loop: Header=BB15_4 Depth=1
	v_mul_f32_e32 v7, v24, v14
	v_mul_f32_e32 v8, v23, v14
	v_fma_f32 v7, v23, v13, -v7
	v_fmac_f32_e32 v8, v24, v13
	v_sub_f32_e32 v7, v19, v7
	v_sub_f32_e32 v8, v20, v8
	s_mov_b64 s[28:29], 0
.LBB15_10:                              ;   in Loop: Header=BB15_4 Depth=1
	s_andn2_b64 vcc, exec, s[28:29]
	s_cbranch_vccnz .LBB15_12
; %bb.11:                               ;   in Loop: Header=BB15_4 Depth=1
	v_mul_f32_e32 v7, s13, v14
	v_mul_f32_e32 v8, s12, v14
	v_fma_f32 v7, v13, s12, -v7
	v_fmac_f32_e32 v8, s13, v13
	v_add_f32_e32 v7, v15, v7
	v_add_f32_e32 v8, v16, v8
.LBB15_12:                              ;   in Loop: Header=BB15_4 Depth=1
	s_waitcnt vmcnt(0)
	v_sub_f32_e32 v15, v9, v1
	v_sub_f32_e32 v16, v10, v2
	s_and_b64 vcc, exec, s[2:3]
	s_mov_b64 s[28:29], -1
                                        ; implicit-def: $vgpr14
	s_cbranch_vccnz .LBB15_14
; %bb.13:                               ;   in Loop: Header=BB15_4 Depth=1
	v_mul_f32_e32 v13, v24, v16
	v_mul_f32_e32 v14, v23, v16
	v_fma_f32 v13, v23, v15, -v13
	v_fmac_f32_e32 v14, v24, v15
	v_sub_f32_e32 v13, v9, v13
	v_sub_f32_e32 v14, v10, v14
	s_mov_b64 s[28:29], 0
.LBB15_14:                              ;   in Loop: Header=BB15_4 Depth=1
	s_andn2_b64 vcc, exec, s[28:29]
	s_cbranch_vccnz .LBB15_16
; %bb.15:                               ;   in Loop: Header=BB15_4 Depth=1
	v_mul_f32_e32 v9, s13, v16
	v_mul_f32_e32 v10, s12, v16
	v_fma_f32 v9, v15, s12, -v9
	v_fmac_f32_e32 v10, s13, v15
	v_add_f32_e32 v13, v1, v9
	v_add_f32_e32 v14, v2, v10
.LBB15_16:                              ;   in Loop: Header=BB15_4 Depth=1
	v_sub_f32_e32 v1, v11, v3
	v_sub_f32_e32 v2, v12, v4
	s_and_b64 vcc, exec, s[2:3]
	s_mov_b64 s[2:3], -1
	s_cbranch_vccnz .LBB15_18
; %bb.17:                               ;   in Loop: Header=BB15_4 Depth=1
	v_mul_f32_e32 v9, v24, v2
	v_mul_f32_e32 v10, v23, v2
	v_fma_f32 v9, v23, v1, -v9
	v_fmac_f32_e32 v10, v24, v1
	v_sub_f32_e32 v15, v11, v9
	v_sub_f32_e32 v16, v12, v10
	s_mov_b64 s[2:3], 0
.LBB15_18:                              ;   in Loop: Header=BB15_4 Depth=1
	s_andn2_b64 vcc, exec, s[2:3]
	s_cbranch_vccnz .LBB15_3
; %bb.19:                               ;   in Loop: Header=BB15_4 Depth=1
	v_mul_f32_e32 v9, s13, v2
	v_mul_f32_e32 v2, s12, v2
	v_fma_f32 v9, v1, s12, -v9
	v_fmac_f32_e32 v2, s13, v1
	v_add_f32_e32 v15, v3, v9
	v_add_f32_e32 v16, v4, v2
	s_branch .LBB15_3
.LBB15_20:
	s_or_b64 exec, exec, s[10:11]
	s_mov_b64 s[0:1], 0
.LBB15_21:
	s_andn2_b64 vcc, exec, s[0:1]
	s_cbranch_vccnz .LBB15_57
; %bb.22:
	v_cmp_lt_i64_e64 s[0:1], s[6:7], 1
	s_and_b64 vcc, exec, s[0:1]
	s_cbranch_vccnz .LBB15_57
; %bb.23:
	v_mov_b32_e32 v1, 0x10000
	s_load_dword s2, s[4:5], 0xc64
	v_mov_b32_e32 v2, 0
	v_cmp_lt_i64_e32 vcc, s[6:7], v[1:2]
	v_sub_f32_e64 v27, 1.0, s12
	s_and_b64 s[0:1], vcc, exec
	v_cmp_lt_u64_e32 vcc, s[6:7], v[1:2]
	s_cselect_b32 s21, s7, 0
	s_cselect_b32 s20, s6, 0x10000
	s_waitcnt lgkmcnt(0)
	s_and_b32 s28, s2, 0xffff
	s_and_b64 s[0:1], vcc, exec
	v_mul_f32_e64 v1, s13, s13
	v_fmac_f32_e64 v1, s12, s12
	s_mov_b32 s0, 0x3e800000
	s_cselect_b32 s23, s7, 0
	s_cselect_b32 s22, s6, 0x10000
	s_lshl_b32 s29, s28, 1
	s_mul_i32 s30, s28, 3
	v_cmp_ngt_f32_e64 s[0:1], s0, v1
	v_sub_f32_e64 v28, 0, s13
	s_lshl_b32 s31, s28, 2
	s_mov_b64 s[24:25], 0
	s_branch .LBB15_25
.LBB15_24:                              ;   in Loop: Header=BB15_25 Depth=1
	s_or_b64 exec, exec, s[2:3]
	s_add_u32 s24, s24, s31
	v_mov_b32_e32 v1, s20
	s_addc_u32 s25, s25, 0
	v_mov_b32_e32 v2, s21
	v_cmp_ge_i64_e32 vcc, s[24:25], v[1:2]
	s_cbranch_vccnz .LBB15_57
.LBB15_25:                              ; =>This Inner Loop Header: Depth=1
	v_mov_b32_e32 v2, s25
	v_add_co_u32_e32 v1, vcc, s24, v0
	v_addc_co_u32_e32 v2, vcc, 0, v2, vcc
	v_cmp_gt_u64_e64 s[2:3], s[22:23], v[1:2]
	v_mov_b32_e32 v26, 0
	v_mov_b32_e32 v25, 0
	;; [unrolled: 1-line block ×4, first 2 shown]
	s_and_saveexec_b64 s[4:5], s[2:3]
	s_cbranch_execz .LBB15_27
; %bb.26:                               ;   in Loop: Header=BB15_25 Depth=1
	v_lshlrev_b64 v[3:4], 3, v[1:2]
	v_mov_b32_e32 v6, s17
	v_add_co_u32_e32 v5, vcc, s16, v3
	v_addc_co_u32_e32 v6, vcc, v6, v4, vcc
	v_mov_b32_e32 v7, s15
	v_add_co_u32_e32 v3, vcc, s14, v3
	v_addc_co_u32_e32 v4, vcc, v7, v4, vcc
	global_load_dwordx2 v[17:18], v[3:4], off
	global_load_dwordx2 v[25:26], v[5:6], off
.LBB15_27:                              ;   in Loop: Header=BB15_25 Depth=1
	s_or_b64 exec, exec, s[4:5]
	v_add_co_u32_e32 v3, vcc, s28, v1
	v_addc_co_u32_e32 v4, vcc, 0, v2, vcc
	v_cmp_gt_u64_e64 s[4:5], s[22:23], v[3:4]
	v_mov_b32_e32 v10, 0
	v_mov_b32_e32 v22, 0
	;; [unrolled: 1-line block ×5, first 2 shown]
	s_and_saveexec_b64 s[6:7], s[4:5]
	s_cbranch_execz .LBB15_29
; %bb.28:                               ;   in Loop: Header=BB15_25 Depth=1
	v_lshlrev_b64 v[5:6], 3, v[3:4]
	v_mov_b32_e32 v8, s17
	v_add_co_u32_e32 v7, vcc, s16, v5
	v_addc_co_u32_e32 v8, vcc, v8, v6, vcc
	v_mov_b32_e32 v9, s15
	v_add_co_u32_e32 v5, vcc, s14, v5
	v_addc_co_u32_e32 v6, vcc, v9, v6, vcc
	global_load_dwordx2 v[11:12], v[5:6], off
	global_load_dwordx2 v[21:22], v[7:8], off
.LBB15_29:                              ;   in Loop: Header=BB15_25 Depth=1
	s_or_b64 exec, exec, s[6:7]
	v_add_co_u32_e32 v5, vcc, s29, v1
	v_addc_co_u32_e32 v6, vcc, 0, v2, vcc
	v_cmp_gt_u64_e64 s[6:7], s[22:23], v[5:6]
	v_mov_b32_e32 v9, 0
	v_mov_b32_e32 v14, 0
	;; [unrolled: 1-line block ×3, first 2 shown]
	s_and_saveexec_b64 s[8:9], s[6:7]
	s_cbranch_execz .LBB15_31
; %bb.30:                               ;   in Loop: Header=BB15_25 Depth=1
	v_lshlrev_b64 v[7:8], 3, v[5:6]
	v_mov_b32_e32 v9, s17
	v_add_co_u32_e32 v15, vcc, s16, v7
	v_addc_co_u32_e32 v16, vcc, v9, v8, vcc
	v_mov_b32_e32 v9, s15
	v_add_co_u32_e32 v7, vcc, s14, v7
	v_addc_co_u32_e32 v8, vcc, v9, v8, vcc
	global_load_dwordx2 v[13:14], v[7:8], off
	global_load_dwordx2 v[9:10], v[15:16], off
.LBB15_31:                              ;   in Loop: Header=BB15_25 Depth=1
	s_or_b64 exec, exec, s[8:9]
	v_add_co_u32_e32 v7, vcc, s30, v1
	v_addc_co_u32_e32 v8, vcc, 0, v2, vcc
	v_cmp_gt_u64_e64 s[8:9], s[22:23], v[7:8]
	v_mov_b32_e32 v24, 0
	v_mov_b32_e32 v23, 0
	;; [unrolled: 1-line block ×4, first 2 shown]
	s_and_saveexec_b64 s[10:11], s[8:9]
	s_cbranch_execz .LBB15_33
; %bb.32:                               ;   in Loop: Header=BB15_25 Depth=1
	v_lshlrev_b64 v[15:16], 3, v[7:8]
	v_mov_b32_e32 v20, s17
	v_add_co_u32_e32 v19, vcc, s16, v15
	v_addc_co_u32_e32 v20, vcc, v20, v16, vcc
	v_mov_b32_e32 v23, s15
	v_add_co_u32_e32 v29, vcc, s14, v15
	v_addc_co_u32_e32 v30, vcc, v23, v16, vcc
	global_load_dwordx2 v[15:16], v[29:30], off
	global_load_dwordx2 v[23:24], v[19:20], off
.LBB15_33:                              ;   in Loop: Header=BB15_25 Depth=1
	s_or_b64 exec, exec, s[10:11]
	s_waitcnt vmcnt(0)
	v_sub_f32_e32 v30, v25, v17
	v_sub_f32_e32 v29, v26, v18
	s_mov_b64 s[10:11], -1
	s_and_b64 vcc, exec, s[0:1]
                                        ; implicit-def: $vgpr20
	s_cbranch_vccz .LBB15_35
; %bb.34:                               ;   in Loop: Header=BB15_25 Depth=1
	v_mul_f32_e32 v19, v28, v29
	v_mul_f32_e32 v20, v28, v30
	v_fma_f32 v19, v27, v30, -v19
	v_fmac_f32_e32 v20, v27, v29
	v_sub_f32_e32 v19, v25, v19
	v_sub_f32_e32 v20, v26, v20
	s_mov_b64 s[10:11], 0
.LBB15_35:                              ;   in Loop: Header=BB15_25 Depth=1
	s_andn2_b64 vcc, exec, s[10:11]
	s_cbranch_vccnz .LBB15_37
; %bb.36:                               ;   in Loop: Header=BB15_25 Depth=1
	v_mul_f32_e32 v19, s13, v29
	v_mul_f32_e32 v20, s13, v30
	v_fma_f32 v19, v30, s12, -v19
	v_fmac_f32_e32 v20, s12, v29
	v_add_f32_e32 v19, v17, v19
	v_add_f32_e32 v20, v18, v20
.LBB15_37:                              ;   in Loop: Header=BB15_25 Depth=1
	v_cndmask_b32_e64 v17, 0, 1, s[0:1]
	v_sub_f32_e32 v26, v21, v11
	v_sub_f32_e32 v25, v22, v12
	v_cmp_ne_u32_e64 s[10:11], 1, v17
	s_andn2_b64 vcc, exec, s[0:1]
	s_mov_b64 s[26:27], -1
                                        ; implicit-def: $vgpr18
	s_cbranch_vccnz .LBB15_39
; %bb.38:                               ;   in Loop: Header=BB15_25 Depth=1
	v_mul_f32_e32 v17, v28, v25
	v_mul_f32_e32 v18, v28, v26
	v_fma_f32 v17, v27, v26, -v17
	v_fmac_f32_e32 v18, v27, v25
	v_sub_f32_e32 v17, v21, v17
	v_sub_f32_e32 v18, v22, v18
	s_mov_b64 s[26:27], 0
.LBB15_39:                              ;   in Loop: Header=BB15_25 Depth=1
	s_andn2_b64 vcc, exec, s[26:27]
	s_cbranch_vccnz .LBB15_41
; %bb.40:                               ;   in Loop: Header=BB15_25 Depth=1
	v_mul_f32_e32 v17, s13, v25
	v_mul_f32_e32 v18, s13, v26
	v_fma_f32 v17, v26, s12, -v17
	v_fmac_f32_e32 v18, s12, v25
	v_add_f32_e32 v17, v11, v17
	v_add_f32_e32 v18, v12, v18
.LBB15_41:                              ;   in Loop: Header=BB15_25 Depth=1
	v_sub_f32_e32 v22, v9, v13
	v_sub_f32_e32 v21, v10, v14
	s_and_b64 vcc, exec, s[10:11]
	s_mov_b64 s[26:27], -1
                                        ; implicit-def: $vgpr12
	s_cbranch_vccnz .LBB15_43
; %bb.42:                               ;   in Loop: Header=BB15_25 Depth=1
	v_mul_f32_e32 v11, v28, v21
	v_mul_f32_e32 v12, v28, v22
	v_fma_f32 v11, v27, v22, -v11
	v_fmac_f32_e32 v12, v27, v21
	v_sub_f32_e32 v11, v9, v11
	v_sub_f32_e32 v12, v10, v12
	s_mov_b64 s[26:27], 0
.LBB15_43:                              ;   in Loop: Header=BB15_25 Depth=1
	s_andn2_b64 vcc, exec, s[26:27]
	s_cbranch_vccnz .LBB15_45
; %bb.44:                               ;   in Loop: Header=BB15_25 Depth=1
	v_mul_f32_e32 v9, s13, v21
	v_mul_f32_e32 v10, s13, v22
	v_fma_f32 v9, v22, s12, -v9
	v_fmac_f32_e32 v10, s12, v21
	v_add_f32_e32 v11, v13, v9
	v_add_f32_e32 v12, v14, v10
.LBB15_45:                              ;   in Loop: Header=BB15_25 Depth=1
	v_sub_f32_e32 v14, v23, v15
	v_sub_f32_e32 v13, v24, v16
	s_and_b64 vcc, exec, s[10:11]
	s_mov_b64 s[10:11], -1
                                        ; implicit-def: $vgpr10
	s_cbranch_vccz .LBB15_51
; %bb.46:                               ;   in Loop: Header=BB15_25 Depth=1
	s_andn2_b64 vcc, exec, s[10:11]
	s_cbranch_vccz .LBB15_52
.LBB15_47:                              ;   in Loop: Header=BB15_25 Depth=1
	s_and_saveexec_b64 s[10:11], s[2:3]
	s_xor_b64 s[2:3], exec, s[10:11]
	s_cbranch_execnz .LBB15_53
.LBB15_48:                              ;   in Loop: Header=BB15_25 Depth=1
	s_or_b64 exec, exec, s[2:3]
	s_and_saveexec_b64 s[2:3], s[4:5]
	s_cbranch_execnz .LBB15_54
.LBB15_49:                              ;   in Loop: Header=BB15_25 Depth=1
	s_or_b64 exec, exec, s[2:3]
	s_and_saveexec_b64 s[2:3], s[6:7]
	s_cbranch_execnz .LBB15_55
.LBB15_50:                              ;   in Loop: Header=BB15_25 Depth=1
	s_or_b64 exec, exec, s[2:3]
	s_and_saveexec_b64 s[2:3], s[8:9]
	s_cbranch_execz .LBB15_24
	s_branch .LBB15_56
.LBB15_51:                              ;   in Loop: Header=BB15_25 Depth=1
	v_mul_f32_e32 v9, v28, v13
	v_mul_f32_e32 v10, v28, v14
	v_fma_f32 v9, v27, v14, -v9
	v_fmac_f32_e32 v10, v27, v13
	v_sub_f32_e32 v9, v23, v9
	v_sub_f32_e32 v10, v24, v10
	s_cbranch_execnz .LBB15_47
.LBB15_52:                              ;   in Loop: Header=BB15_25 Depth=1
	v_mul_f32_e32 v9, s13, v13
	v_mul_f32_e32 v10, s13, v14
	v_fma_f32 v9, v14, s12, -v9
	v_fmac_f32_e32 v10, s12, v13
	v_add_f32_e32 v9, v15, v9
	v_add_f32_e32 v10, v16, v10
	s_and_saveexec_b64 s[10:11], s[2:3]
	s_xor_b64 s[2:3], exec, s[10:11]
	s_cbranch_execz .LBB15_48
.LBB15_53:                              ;   in Loop: Header=BB15_25 Depth=1
	v_lshlrev_b64 v[1:2], 3, v[1:2]
	v_mov_b32_e32 v13, s19
	v_add_co_u32_e32 v1, vcc, s18, v1
	v_addc_co_u32_e32 v2, vcc, v13, v2, vcc
	global_store_dwordx2 v[1:2], v[19:20], off
	s_or_b64 exec, exec, s[2:3]
	s_and_saveexec_b64 s[2:3], s[4:5]
	s_cbranch_execz .LBB15_49
.LBB15_54:                              ;   in Loop: Header=BB15_25 Depth=1
	v_lshlrev_b64 v[1:2], 3, v[3:4]
	v_mov_b32_e32 v3, s19
	v_add_co_u32_e32 v1, vcc, s18, v1
	v_addc_co_u32_e32 v2, vcc, v3, v2, vcc
	global_store_dwordx2 v[1:2], v[17:18], off
	s_or_b64 exec, exec, s[2:3]
	s_and_saveexec_b64 s[2:3], s[6:7]
	s_cbranch_execz .LBB15_50
.LBB15_55:                              ;   in Loop: Header=BB15_25 Depth=1
	v_lshlrev_b64 v[1:2], 3, v[5:6]
	v_mov_b32_e32 v3, s19
	v_add_co_u32_e32 v1, vcc, s18, v1
	v_addc_co_u32_e32 v2, vcc, v3, v2, vcc
	global_store_dwordx2 v[1:2], v[11:12], off
	s_or_b64 exec, exec, s[2:3]
	s_and_saveexec_b64 s[2:3], s[8:9]
	s_cbranch_execz .LBB15_24
.LBB15_56:                              ;   in Loop: Header=BB15_25 Depth=1
	v_lshlrev_b64 v[1:2], 3, v[7:8]
	v_mov_b32_e32 v3, s19
	v_add_co_u32_e32 v1, vcc, s18, v1
	v_addc_co_u32_e32 v2, vcc, v3, v2, vcc
	global_store_dwordx2 v[1:2], v[9:10], off
	s_branch .LBB15_24
.LBB15_57:
	s_endpgm
	.section	.rodata,"a",@progbits
	.p2align	6, 0x0
	.amdhsa_kernel _ZN2at6native12_GLOBAL__N_125multi_tensor_apply_kernelINS1_18TensorListMetadataILi3EEENS1_22TernaryOpScalarFunctorIN3c107complexIfEELi3ELi2ELi2EEEJNS0_11LerpFunctorIS8_EES8_EEEvT_T0_DpT1_
		.amdhsa_group_segment_fixed_size 0
		.amdhsa_private_segment_fixed_size 0
		.amdhsa_kernarg_size 3416
		.amdhsa_user_sgpr_count 6
		.amdhsa_user_sgpr_private_segment_buffer 1
		.amdhsa_user_sgpr_dispatch_ptr 0
		.amdhsa_user_sgpr_queue_ptr 0
		.amdhsa_user_sgpr_kernarg_segment_ptr 1
		.amdhsa_user_sgpr_dispatch_id 0
		.amdhsa_user_sgpr_flat_scratch_init 0
		.amdhsa_user_sgpr_private_segment_size 0
		.amdhsa_uses_dynamic_stack 0
		.amdhsa_system_sgpr_private_segment_wavefront_offset 0
		.amdhsa_system_sgpr_workgroup_id_x 1
		.amdhsa_system_sgpr_workgroup_id_y 0
		.amdhsa_system_sgpr_workgroup_id_z 0
		.amdhsa_system_sgpr_workgroup_info 0
		.amdhsa_system_vgpr_workitem_id 0
		.amdhsa_next_free_vgpr 31
		.amdhsa_next_free_sgpr 32
		.amdhsa_reserve_vcc 1
		.amdhsa_reserve_flat_scratch 0
		.amdhsa_float_round_mode_32 0
		.amdhsa_float_round_mode_16_64 0
		.amdhsa_float_denorm_mode_32 3
		.amdhsa_float_denorm_mode_16_64 3
		.amdhsa_dx10_clamp 1
		.amdhsa_ieee_mode 1
		.amdhsa_fp16_overflow 0
		.amdhsa_exception_fp_ieee_invalid_op 0
		.amdhsa_exception_fp_denorm_src 0
		.amdhsa_exception_fp_ieee_div_zero 0
		.amdhsa_exception_fp_ieee_overflow 0
		.amdhsa_exception_fp_ieee_underflow 0
		.amdhsa_exception_fp_ieee_inexact 0
		.amdhsa_exception_int_div_zero 0
	.end_amdhsa_kernel
	.section	.text._ZN2at6native12_GLOBAL__N_125multi_tensor_apply_kernelINS1_18TensorListMetadataILi3EEENS1_22TernaryOpScalarFunctorIN3c107complexIfEELi3ELi2ELi2EEEJNS0_11LerpFunctorIS8_EES8_EEEvT_T0_DpT1_,"axG",@progbits,_ZN2at6native12_GLOBAL__N_125multi_tensor_apply_kernelINS1_18TensorListMetadataILi3EEENS1_22TernaryOpScalarFunctorIN3c107complexIfEELi3ELi2ELi2EEEJNS0_11LerpFunctorIS8_EES8_EEEvT_T0_DpT1_,comdat
.Lfunc_end15:
	.size	_ZN2at6native12_GLOBAL__N_125multi_tensor_apply_kernelINS1_18TensorListMetadataILi3EEENS1_22TernaryOpScalarFunctorIN3c107complexIfEELi3ELi2ELi2EEEJNS0_11LerpFunctorIS8_EES8_EEEvT_T0_DpT1_, .Lfunc_end15-_ZN2at6native12_GLOBAL__N_125multi_tensor_apply_kernelINS1_18TensorListMetadataILi3EEENS1_22TernaryOpScalarFunctorIN3c107complexIfEELi3ELi2ELi2EEEJNS0_11LerpFunctorIS8_EES8_EEEvT_T0_DpT1_
                                        ; -- End function
	.set _ZN2at6native12_GLOBAL__N_125multi_tensor_apply_kernelINS1_18TensorListMetadataILi3EEENS1_22TernaryOpScalarFunctorIN3c107complexIfEELi3ELi2ELi2EEEJNS0_11LerpFunctorIS8_EES8_EEEvT_T0_DpT1_.num_vgpr, 31
	.set _ZN2at6native12_GLOBAL__N_125multi_tensor_apply_kernelINS1_18TensorListMetadataILi3EEENS1_22TernaryOpScalarFunctorIN3c107complexIfEELi3ELi2ELi2EEEJNS0_11LerpFunctorIS8_EES8_EEEvT_T0_DpT1_.num_agpr, 0
	.set _ZN2at6native12_GLOBAL__N_125multi_tensor_apply_kernelINS1_18TensorListMetadataILi3EEENS1_22TernaryOpScalarFunctorIN3c107complexIfEELi3ELi2ELi2EEEJNS0_11LerpFunctorIS8_EES8_EEEvT_T0_DpT1_.numbered_sgpr, 32
	.set _ZN2at6native12_GLOBAL__N_125multi_tensor_apply_kernelINS1_18TensorListMetadataILi3EEENS1_22TernaryOpScalarFunctorIN3c107complexIfEELi3ELi2ELi2EEEJNS0_11LerpFunctorIS8_EES8_EEEvT_T0_DpT1_.num_named_barrier, 0
	.set _ZN2at6native12_GLOBAL__N_125multi_tensor_apply_kernelINS1_18TensorListMetadataILi3EEENS1_22TernaryOpScalarFunctorIN3c107complexIfEELi3ELi2ELi2EEEJNS0_11LerpFunctorIS8_EES8_EEEvT_T0_DpT1_.private_seg_size, 0
	.set _ZN2at6native12_GLOBAL__N_125multi_tensor_apply_kernelINS1_18TensorListMetadataILi3EEENS1_22TernaryOpScalarFunctorIN3c107complexIfEELi3ELi2ELi2EEEJNS0_11LerpFunctorIS8_EES8_EEEvT_T0_DpT1_.uses_vcc, 1
	.set _ZN2at6native12_GLOBAL__N_125multi_tensor_apply_kernelINS1_18TensorListMetadataILi3EEENS1_22TernaryOpScalarFunctorIN3c107complexIfEELi3ELi2ELi2EEEJNS0_11LerpFunctorIS8_EES8_EEEvT_T0_DpT1_.uses_flat_scratch, 0
	.set _ZN2at6native12_GLOBAL__N_125multi_tensor_apply_kernelINS1_18TensorListMetadataILi3EEENS1_22TernaryOpScalarFunctorIN3c107complexIfEELi3ELi2ELi2EEEJNS0_11LerpFunctorIS8_EES8_EEEvT_T0_DpT1_.has_dyn_sized_stack, 0
	.set _ZN2at6native12_GLOBAL__N_125multi_tensor_apply_kernelINS1_18TensorListMetadataILi3EEENS1_22TernaryOpScalarFunctorIN3c107complexIfEELi3ELi2ELi2EEEJNS0_11LerpFunctorIS8_EES8_EEEvT_T0_DpT1_.has_recursion, 0
	.set _ZN2at6native12_GLOBAL__N_125multi_tensor_apply_kernelINS1_18TensorListMetadataILi3EEENS1_22TernaryOpScalarFunctorIN3c107complexIfEELi3ELi2ELi2EEEJNS0_11LerpFunctorIS8_EES8_EEEvT_T0_DpT1_.has_indirect_call, 0
	.section	.AMDGPU.csdata,"",@progbits
; Kernel info:
; codeLenInByte = 2052
; TotalNumSgprs: 36
; NumVgprs: 31
; ScratchSize: 0
; MemoryBound: 1
; FloatMode: 240
; IeeeMode: 1
; LDSByteSize: 0 bytes/workgroup (compile time only)
; SGPRBlocks: 4
; VGPRBlocks: 7
; NumSGPRsForWavesPerEU: 36
; NumVGPRsForWavesPerEU: 31
; Occupancy: 8
; WaveLimiterHint : 0
; COMPUTE_PGM_RSRC2:SCRATCH_EN: 0
; COMPUTE_PGM_RSRC2:USER_SGPR: 6
; COMPUTE_PGM_RSRC2:TRAP_HANDLER: 0
; COMPUTE_PGM_RSRC2:TGID_X_EN: 1
; COMPUTE_PGM_RSRC2:TGID_Y_EN: 0
; COMPUTE_PGM_RSRC2:TGID_Z_EN: 0
; COMPUTE_PGM_RSRC2:TIDIG_COMP_CNT: 0
	.section	.text._ZN2at6native12_GLOBAL__N_125multi_tensor_apply_kernelINS1_18TensorListMetadataILi3EEENS1_22TernaryOpScalarFunctorIN3c104HalfELi3ELi2ELi2EEEJNS0_11LerpFunctorIfEEfEEEvT_T0_DpT1_,"axG",@progbits,_ZN2at6native12_GLOBAL__N_125multi_tensor_apply_kernelINS1_18TensorListMetadataILi3EEENS1_22TernaryOpScalarFunctorIN3c104HalfELi3ELi2ELi2EEEJNS0_11LerpFunctorIfEEfEEEvT_T0_DpT1_,comdat
	.globl	_ZN2at6native12_GLOBAL__N_125multi_tensor_apply_kernelINS1_18TensorListMetadataILi3EEENS1_22TernaryOpScalarFunctorIN3c104HalfELi3ELi2ELi2EEEJNS0_11LerpFunctorIfEEfEEEvT_T0_DpT1_ ; -- Begin function _ZN2at6native12_GLOBAL__N_125multi_tensor_apply_kernelINS1_18TensorListMetadataILi3EEENS1_22TernaryOpScalarFunctorIN3c104HalfELi3ELi2ELi2EEEJNS0_11LerpFunctorIfEEfEEEvT_T0_DpT1_
	.p2align	8
	.type	_ZN2at6native12_GLOBAL__N_125multi_tensor_apply_kernelINS1_18TensorListMetadataILi3EEENS1_22TernaryOpScalarFunctorIN3c104HalfELi3ELi2ELi2EEEJNS0_11LerpFunctorIfEEfEEEvT_T0_DpT1_,@function
_ZN2at6native12_GLOBAL__N_125multi_tensor_apply_kernelINS1_18TensorListMetadataILi3EEENS1_22TernaryOpScalarFunctorIN3c104HalfELi3ELi2ELi2EEEJNS0_11LerpFunctorIfEEfEEEvT_T0_DpT1_: ; @_ZN2at6native12_GLOBAL__N_125multi_tensor_apply_kernelINS1_18TensorListMetadataILi3EEENS1_22TernaryOpScalarFunctorIN3c104HalfELi3ELi2ELi2EEEJNS0_11LerpFunctorIfEEfEEEvT_T0_DpT1_
; %bb.0:
	v_mov_b32_e32 v1, s6
	global_load_ubyte v1, v1, s[4:5] offset:1536
	s_add_u32 s0, s4, s6
	s_mul_hi_u32 s1, s6, 3
	s_mul_i32 s6, s6, 3
	s_addc_u32 s2, s5, 0
	s_add_u32 s0, s0, s6
	s_addc_u32 s1, s2, s1
	s_load_dword s2, s[0:1], 0x740
	s_load_dword s22, s[4:5], 0xc4c
	s_mov_b32 s1, 0
	s_mov_b32 s13, s1
	s_waitcnt lgkmcnt(0)
	s_ashr_i32 s3, s2, 31
	s_lshl_b64 s[10:11], s[2:3], 17
	s_waitcnt vmcnt(0)
	v_readfirstlane_b32 s0, v1
	s_lshl_b32 s0, s0, 3
	s_load_dwordx2 s[16:17], s[4:5], s0 offset:0x0
	s_load_dwordx2 s[18:19], s[4:5], s0 offset:0x480
	;; [unrolled: 1-line block ×4, first 2 shown]
	s_waitcnt lgkmcnt(0)
	s_add_u32 s23, s16, s10
	s_addc_u32 s24, s17, s11
	s_and_b32 s0, s23, 7
	s_add_u32 s25, s8, s10
	s_addc_u32 s26, s9, s11
	s_add_u32 s27, s6, s10
	s_addc_u32 s28, s7, s11
	s_or_b32 s12, s27, s25
	s_and_b32 s12, s12, 7
	s_cmp_lg_u32 s12, 0
	s_cselect_b64 s[20:21], -1, 0
	s_lshl_b64 s[2:3], s[2:3], 16
	s_sub_u32 s14, s18, s2
	s_subb_u32 s15, s19, s3
	s_and_b32 s12, s18, 3
	s_or_b64 s[0:1], s[0:1], s[12:13]
	s_cmp_lg_u64 s[0:1], 0
	s_cselect_b64 s[0:1], -1, 0
	s_or_b64 s[0:1], s[20:21], s[0:1]
	s_andn2_b64 vcc, exec, s[0:1]
	s_mov_b64 s[0:1], -1
	s_cbranch_vccz .LBB16_5
; %bb.1:
	v_mov_b32_e32 v1, 0x10000
	v_mov_b32_e32 v2, 0
	v_cmp_lt_i64_e32 vcc, s[14:15], v[1:2]
	v_mov_b32_e32 v2, 0
	s_and_b64 s[0:1], vcc, exec
	s_cselect_b32 s13, s15, 0
	s_cselect_b32 s12, s14, 0x10000
	v_lshlrev_b32_e32 v1, 2, v0
	v_cmp_gt_i64_e32 vcc, s[12:13], v[1:2]
	s_and_saveexec_b64 s[18:19], vcc
	s_cbranch_execz .LBB16_4
; %bb.2:
	s_load_dword s0, s[4:5], 0xc5c
	v_mov_b32_e32 v1, v2
	v_mov_b32_e32 v2, v1
	v_cmp_lt_f32_e64 vcc, |s22|, 0.5
	v_sub_f32_e64 v3, 1.0, s22
	s_waitcnt lgkmcnt(0)
	s_and_b32 s29, s0, 0xffff
	v_lshlrev_b32_e32 v4, 3, v0
	s_lshl_b32 s30, s29, 3
	s_mov_b64 s[20:21], 0
	v_mov_b32_e32 v1, v0
.LBB16_3:                               ; =>This Inner Loop Header: Depth=1
	v_mov_b32_e32 v6, s24
	v_add_co_u32_e64 v7, s[2:3], s23, v4
	v_mov_b32_e32 v9, s26
	v_add_co_u32_e64 v5, s[0:1], s25, v4
	v_addc_co_u32_e64 v8, s[2:3], 0, v6, s[2:3]
	v_addc_co_u32_e64 v6, s[0:1], 0, v9, s[0:1]
	global_load_dwordx2 v[9:10], v[7:8], off
	global_load_dwordx2 v[11:12], v[5:6], off
	v_add_co_u32_e64 v1, s[2:3], s29, v1
	v_addc_co_u32_e64 v2, s[2:3], 0, v2, s[2:3]
	v_mov_b32_e32 v6, s28
	v_add_co_u32_e64 v5, s[0:1], s27, v4
	v_lshlrev_b64 v[7:8], 2, v[1:2]
	v_addc_co_u32_e64 v6, s[0:1], 0, v6, s[0:1]
	v_cmp_le_i64_e64 s[0:1], s[12:13], v[7:8]
	s_add_u32 s27, s27, s30
	s_addc_u32 s28, s28, 0
	s_add_u32 s23, s23, s30
	s_addc_u32 s24, s24, 0
	;; [unrolled: 2-line block ×3, first 2 shown]
	s_or_b64 s[20:21], s[0:1], s[20:21]
	s_waitcnt vmcnt(1)
	v_cvt_f32_f16_e32 v7, v9
	s_waitcnt vmcnt(0)
	v_cvt_f32_f16_e32 v8, v11
	v_cvt_f32_f16_sdwa v13, v9 dst_sel:DWORD dst_unused:UNUSED_PAD src0_sel:WORD_1
	v_cvt_f32_f16_sdwa v14, v11 dst_sel:DWORD dst_unused:UNUSED_PAD src0_sel:WORD_1
	v_cvt_f32_f16_e32 v15, v10
	v_cvt_f32_f16_e32 v16, v12
	v_cvt_f32_f16_sdwa v17, v10 dst_sel:DWORD dst_unused:UNUSED_PAD src0_sel:WORD_1
	v_cvt_f32_f16_sdwa v18, v12 dst_sel:DWORD dst_unused:UNUSED_PAD src0_sel:WORD_1
	v_sub_f32_e32 v7, v8, v7
	v_sub_f32_e32 v8, v14, v13
	;; [unrolled: 1-line block ×4, first 2 shown]
	v_fma_mix_f32 v15, s22, v7, v9 op_sel_hi:[0,0,1]
	v_fma_mix_f32 v7, -v3, v7, v11 op_sel_hi:[0,0,1]
	v_fma_mix_f32 v9, s22, v8, v9 op_sel:[0,0,1] op_sel_hi:[0,0,1]
	v_fma_mix_f32 v8, -v3, v8, v11 op_sel:[0,0,1] op_sel_hi:[0,0,1]
	v_fma_mix_f32 v11, s22, v13, v10 op_sel_hi:[0,0,1]
	v_fma_mix_f32 v13, -v3, v13, v12 op_sel_hi:[0,0,1]
	v_fma_mix_f32 v10, s22, v14, v10 op_sel:[0,0,1] op_sel_hi:[0,0,1]
	v_fma_mix_f32 v12, -v3, v14, v12 op_sel:[0,0,1] op_sel_hi:[0,0,1]
	v_cndmask_b32_e32 v7, v7, v15, vcc
	v_cndmask_b32_e32 v8, v8, v9, vcc
	;; [unrolled: 1-line block ×4, first 2 shown]
	v_cvt_f16_f32_e32 v7, v7
	v_cvt_f16_f32_e32 v9, v9
	;; [unrolled: 1-line block ×4, first 2 shown]
	v_pack_b32_f16 v8, v9, v10
	v_pack_b32_f16 v7, v7, v11
	global_store_dwordx2 v[5:6], v[7:8], off
	s_andn2_b64 exec, exec, s[20:21]
	s_cbranch_execnz .LBB16_3
.LBB16_4:
	s_or_b64 exec, exec, s[18:19]
	s_mov_b64 s[0:1], 0
.LBB16_5:
	s_andn2_b64 vcc, exec, s[0:1]
	s_cbranch_vccnz .LBB16_25
; %bb.6:
	v_cmp_lt_i64_e64 s[0:1], s[14:15], 1
	s_and_b64 vcc, exec, s[0:1]
	s_cbranch_vccnz .LBB16_25
; %bb.7:
	v_mov_b32_e32 v1, 0x10000
	s_load_dword s2, s[4:5], 0xc5c
	v_mov_b32_e32 v2, 0
	v_cmp_lt_i64_e32 vcc, s[14:15], v[1:2]
	v_mov_b32_e32 v18, 0
	s_and_b64 s[0:1], vcc, exec
	s_cselect_b32 s13, s15, 0
	s_cselect_b32 s12, s14, 0x10000
	s_waitcnt lgkmcnt(0)
	s_and_b32 s2, s2, 0xffff
	v_lshlrev_b32_e32 v17, 1, v0
	v_mad_u64_u32 v[5:6], s[0:1], s2, 6, v[17:18]
	v_cmp_lt_u64_e32 vcc, s[14:15], v[1:2]
	v_mov_b32_e32 v2, s17
	s_and_b64 s[0:1], vcc, exec
	v_add_co_u32_e32 v1, vcc, s16, v5
	v_addc_co_u32_e32 v2, vcc, v2, v6, vcc
	v_mov_b32_e32 v4, s9
	v_add_co_u32_e32 v3, vcc, s8, v5
	v_addc_co_u32_e32 v4, vcc, v4, v6, vcc
	v_mov_b32_e32 v7, s7
	v_add_co_u32_e32 v5, vcc, s6, v5
	s_cselect_b32 s15, s15, 0
	s_cselect_b32 s14, s14, 0x10000
	s_lshl_b32 s20, s2, 2
	v_addc_co_u32_e32 v6, vcc, v7, v6, vcc
	v_add_co_u32_e32 v11, vcc, s20, v17
	v_addc_co_u32_e64 v12, s[0:1], 0, 0, vcc
	v_mov_b32_e32 v8, s17
	v_add_co_u32_e32 v7, vcc, s16, v11
	v_addc_co_u32_e32 v8, vcc, v8, v12, vcc
	v_mov_b32_e32 v10, s9
	v_add_co_u32_e32 v9, vcc, s8, v11
	v_addc_co_u32_e32 v10, vcc, v10, v12, vcc
	;; [unrolled: 3-line block ×6, first 2 shown]
	v_add_co_u32_e32 v19, vcc, s2, v0
	v_lshlrev_b32_e32 v25, 1, v19
	s_lshl_b32 s4, s2, 1
	s_mul_i32 s5, s2, 3
	s_lshl_b32 s21, s2, 3
	v_addc_co_u32_e64 v20, s[2:3], 0, 0, vcc
	v_mov_b32_e32 v22, s17
	v_add_co_u32_e32 v21, vcc, s16, v25
	v_addc_co_u32_e32 v22, vcc, 0, v22, vcc
	v_mov_b32_e32 v24, s9
	v_add_co_u32_e32 v23, vcc, s8, v25
	v_addc_co_u32_e32 v24, vcc, 0, v24, vcc
	;; [unrolled: 3-line block ×3, first 2 shown]
	v_add_co_u32_e32 v28, vcc, s5, v0
	v_addc_co_u32_e64 v29, s[2:3], 0, 0, vcc
	v_add_co_u32_e32 v30, vcc, s4, v0
	v_cmp_lt_f32_e64 s[0:1], |s22|, 0.5
	s_mov_b64 s[16:17], 0
	v_sub_f32_e64 v27, 1.0, s22
	v_addc_co_u32_e64 v31, s[2:3], 0, 0, vcc
	s_branch .LBB16_9
.LBB16_8:                               ;   in Loop: Header=BB16_9 Depth=1
	s_or_b64 exec, exec, s[2:3]
	v_add_co_u32_e32 v13, vcc, s21, v13
	v_addc_co_u32_e32 v14, vcc, 0, v14, vcc
	v_add_co_u32_e32 v15, vcc, s21, v15
	v_addc_co_u32_e32 v16, vcc, 0, v16, vcc
	;; [unrolled: 2-line block ×10, first 2 shown]
	s_add_u32 s16, s16, s20
	v_add_co_u32_e32 v23, vcc, s21, v23
	v_mov_b32_e32 v33, s13
	s_addc_u32 s17, s17, 0
	v_addc_co_u32_e32 v24, vcc, 0, v24, vcc
	v_mov_b32_e32 v32, s12
	v_cmp_ge_i64_e32 vcc, s[16:17], v[32:33]
	v_add_co_u32_e64 v25, s[2:3], s21, v25
	v_addc_co_u32_e64 v26, s[2:3], 0, v26, s[2:3]
	s_cbranch_vccnz .LBB16_25
.LBB16_9:                               ; =>This Inner Loop Header: Depth=1
	v_mov_b32_e32 v33, s17
	v_add_co_u32_e32 v32, vcc, s16, v0
	v_addc_co_u32_e32 v33, vcc, 0, v33, vcc
	v_cmp_gt_u64_e32 vcc, s[14:15], v[32:33]
	v_mov_b32_e32 v34, 0
	v_mov_b32_e32 v32, 0
	s_and_saveexec_b64 s[4:5], vcc
	s_cbranch_execz .LBB16_11
; %bb.10:                               ;   in Loop: Header=BB16_9 Depth=1
	v_mov_b32_e32 v35, s11
	v_add_co_u32_e64 v32, s[2:3], s10, v15
	v_addc_co_u32_e64 v33, s[2:3], v16, v35, s[2:3]
	v_add_co_u32_e64 v34, s[2:3], s10, v13
	v_addc_co_u32_e64 v35, s[2:3], v14, v35, s[2:3]
	global_load_ushort v36, v[34:35], off
	global_load_ushort v37, v[32:33], off
	s_waitcnt vmcnt(1)
	v_cvt_f32_f16_e32 v32, v36
	s_waitcnt vmcnt(0)
	v_cvt_f32_f16_e32 v34, v37
.LBB16_11:                              ;   in Loop: Header=BB16_9 Depth=1
	s_or_b64 exec, exec, s[4:5]
	v_mov_b32_e32 v33, s17
	v_add_co_u32_e64 v35, s[2:3], s16, v19
	v_addc_co_u32_e64 v36, s[2:3], v20, v33, s[2:3]
	v_cmp_gt_u64_e64 s[2:3], s[14:15], v[35:36]
	v_mov_b32_e32 v33, 0
	v_mov_b32_e32 v36, 0
	;; [unrolled: 1-line block ×3, first 2 shown]
	s_and_saveexec_b64 s[6:7], s[2:3]
	s_cbranch_execz .LBB16_13
; %bb.12:                               ;   in Loop: Header=BB16_9 Depth=1
	v_mov_b32_e32 v38, s11
	v_add_co_u32_e64 v35, s[4:5], s10, v23
	v_addc_co_u32_e64 v36, s[4:5], v24, v38, s[4:5]
	v_add_co_u32_e64 v37, s[4:5], s10, v21
	v_addc_co_u32_e64 v38, s[4:5], v22, v38, s[4:5]
	global_load_ushort v39, v[37:38], off
	global_load_ushort v40, v[35:36], off
	s_waitcnt vmcnt(1)
	v_cvt_f32_f16_e32 v35, v39
	s_waitcnt vmcnt(0)
	v_cvt_f32_f16_e32 v36, v40
.LBB16_13:                              ;   in Loop: Header=BB16_9 Depth=1
	s_or_b64 exec, exec, s[6:7]
	v_mov_b32_e32 v38, s17
	v_add_co_u32_e64 v37, s[4:5], s16, v30
	v_addc_co_u32_e64 v38, s[4:5], v31, v38, s[4:5]
	v_cmp_gt_u64_e64 s[4:5], s[14:15], v[37:38]
	v_mov_b32_e32 v37, 0
	s_and_saveexec_b64 s[8:9], s[4:5]
	s_cbranch_execz .LBB16_15
; %bb.14:                               ;   in Loop: Header=BB16_9 Depth=1
	v_mov_b32_e32 v33, s11
	v_add_co_u32_e64 v37, s[6:7], s10, v9
	v_addc_co_u32_e64 v38, s[6:7], v10, v33, s[6:7]
	v_add_co_u32_e64 v39, s[6:7], s10, v7
	v_addc_co_u32_e64 v40, s[6:7], v8, v33, s[6:7]
	global_load_ushort v33, v[39:40], off
	global_load_ushort v41, v[37:38], off
	s_waitcnt vmcnt(1)
	v_cvt_f32_f16_e32 v37, v33
	s_waitcnt vmcnt(0)
	v_cvt_f32_f16_e32 v33, v41
.LBB16_15:                              ;   in Loop: Header=BB16_9 Depth=1
	s_or_b64 exec, exec, s[8:9]
	v_mov_b32_e32 v39, s17
	v_add_co_u32_e64 v38, s[6:7], s16, v28
	v_addc_co_u32_e64 v39, s[6:7], v29, v39, s[6:7]
	v_cmp_gt_u64_e64 s[6:7], s[14:15], v[38:39]
	v_mov_b32_e32 v38, 0
	v_mov_b32_e32 v39, 0
	s_and_saveexec_b64 s[18:19], s[6:7]
	s_cbranch_execnz .LBB16_20
; %bb.16:                               ;   in Loop: Header=BB16_9 Depth=1
	s_or_b64 exec, exec, s[18:19]
	s_and_saveexec_b64 s[8:9], vcc
	s_cbranch_execnz .LBB16_21
.LBB16_17:                              ;   in Loop: Header=BB16_9 Depth=1
	s_or_b64 exec, exec, s[8:9]
	s_and_saveexec_b64 s[8:9], s[2:3]
	s_cbranch_execnz .LBB16_22
.LBB16_18:                              ;   in Loop: Header=BB16_9 Depth=1
	s_or_b64 exec, exec, s[8:9]
	s_and_saveexec_b64 s[2:3], s[4:5]
	s_cbranch_execnz .LBB16_23
.LBB16_19:                              ;   in Loop: Header=BB16_9 Depth=1
	s_or_b64 exec, exec, s[2:3]
	s_and_saveexec_b64 s[2:3], s[6:7]
	s_cbranch_execz .LBB16_8
	s_branch .LBB16_24
.LBB16_20:                              ;   in Loop: Header=BB16_9 Depth=1
	v_mov_b32_e32 v41, s11
	v_add_co_u32_e64 v38, s[8:9], s10, v3
	v_addc_co_u32_e64 v39, s[8:9], v4, v41, s[8:9]
	v_add_co_u32_e64 v40, s[8:9], s10, v1
	v_addc_co_u32_e64 v41, s[8:9], v2, v41, s[8:9]
	global_load_ushort v42, v[40:41], off
	global_load_ushort v43, v[38:39], off
	s_waitcnt vmcnt(1)
	v_cvt_f32_f16_e32 v39, v42
	s_waitcnt vmcnt(0)
	v_cvt_f32_f16_e32 v38, v43
	s_or_b64 exec, exec, s[18:19]
	s_and_saveexec_b64 s[8:9], vcc
	s_cbranch_execz .LBB16_17
.LBB16_21:                              ;   in Loop: Header=BB16_9 Depth=1
	v_sub_f32_e32 v40, v34, v32
	v_fmac_f32_e32 v32, s22, v40
	v_fma_f32 v34, -v27, v40, v34
	v_cndmask_b32_e64 v32, v34, v32, s[0:1]
	v_cvt_f16_f32_e32 v32, v32
	v_mov_b32_e32 v41, s11
	v_add_co_u32_e32 v40, vcc, s10, v17
	v_addc_co_u32_e32 v41, vcc, v18, v41, vcc
	global_store_short v[40:41], v32, off
	s_or_b64 exec, exec, s[8:9]
	s_and_saveexec_b64 s[8:9], s[2:3]
	s_cbranch_execz .LBB16_18
.LBB16_22:                              ;   in Loop: Header=BB16_9 Depth=1
	v_sub_f32_e32 v32, v36, v35
	v_fmac_f32_e32 v35, s22, v32
	v_fma_f32 v32, -v27, v32, v36
	v_cndmask_b32_e64 v32, v32, v35, s[0:1]
	v_cvt_f16_f32_e32 v32, v32
	v_mov_b32_e32 v35, s11
	v_add_co_u32_e32 v34, vcc, s10, v25
	v_addc_co_u32_e32 v35, vcc, v26, v35, vcc
	global_store_short v[34:35], v32, off
	s_or_b64 exec, exec, s[8:9]
	s_and_saveexec_b64 s[2:3], s[4:5]
	s_cbranch_execz .LBB16_19
.LBB16_23:                              ;   in Loop: Header=BB16_9 Depth=1
	v_sub_f32_e32 v32, v33, v37
	v_fmac_f32_e32 v37, s22, v32
	v_fma_f32 v32, -v27, v32, v33
	v_cndmask_b32_e64 v32, v32, v37, s[0:1]
	v_cvt_f16_f32_e32 v34, v32
	v_mov_b32_e32 v33, s11
	v_add_co_u32_e32 v32, vcc, s10, v11
	v_addc_co_u32_e32 v33, vcc, v12, v33, vcc
	global_store_short v[32:33], v34, off
	s_or_b64 exec, exec, s[2:3]
	s_and_saveexec_b64 s[2:3], s[6:7]
	s_cbranch_execz .LBB16_8
.LBB16_24:                              ;   in Loop: Header=BB16_9 Depth=1
	v_sub_f32_e32 v32, v38, v39
	v_fmac_f32_e32 v39, s22, v32
	v_fma_f32 v32, -v27, v32, v38
	v_cndmask_b32_e64 v32, v32, v39, s[0:1]
	v_cvt_f16_f32_e32 v34, v32
	v_mov_b32_e32 v33, s11
	v_add_co_u32_e32 v32, vcc, s10, v5
	v_addc_co_u32_e32 v33, vcc, v6, v33, vcc
	global_store_short v[32:33], v34, off
	s_branch .LBB16_8
.LBB16_25:
	s_endpgm
	.section	.rodata,"a",@progbits
	.p2align	6, 0x0
	.amdhsa_kernel _ZN2at6native12_GLOBAL__N_125multi_tensor_apply_kernelINS1_18TensorListMetadataILi3EEENS1_22TernaryOpScalarFunctorIN3c104HalfELi3ELi2ELi2EEEJNS0_11LerpFunctorIfEEfEEEvT_T0_DpT1_
		.amdhsa_group_segment_fixed_size 0
		.amdhsa_private_segment_fixed_size 0
		.amdhsa_kernarg_size 3408
		.amdhsa_user_sgpr_count 6
		.amdhsa_user_sgpr_private_segment_buffer 1
		.amdhsa_user_sgpr_dispatch_ptr 0
		.amdhsa_user_sgpr_queue_ptr 0
		.amdhsa_user_sgpr_kernarg_segment_ptr 1
		.amdhsa_user_sgpr_dispatch_id 0
		.amdhsa_user_sgpr_flat_scratch_init 0
		.amdhsa_user_sgpr_private_segment_size 0
		.amdhsa_uses_dynamic_stack 0
		.amdhsa_system_sgpr_private_segment_wavefront_offset 0
		.amdhsa_system_sgpr_workgroup_id_x 1
		.amdhsa_system_sgpr_workgroup_id_y 0
		.amdhsa_system_sgpr_workgroup_id_z 0
		.amdhsa_system_sgpr_workgroup_info 0
		.amdhsa_system_vgpr_workitem_id 0
		.amdhsa_next_free_vgpr 44
		.amdhsa_next_free_sgpr 31
		.amdhsa_reserve_vcc 1
		.amdhsa_reserve_flat_scratch 0
		.amdhsa_float_round_mode_32 0
		.amdhsa_float_round_mode_16_64 0
		.amdhsa_float_denorm_mode_32 3
		.amdhsa_float_denorm_mode_16_64 3
		.amdhsa_dx10_clamp 1
		.amdhsa_ieee_mode 1
		.amdhsa_fp16_overflow 0
		.amdhsa_exception_fp_ieee_invalid_op 0
		.amdhsa_exception_fp_denorm_src 0
		.amdhsa_exception_fp_ieee_div_zero 0
		.amdhsa_exception_fp_ieee_overflow 0
		.amdhsa_exception_fp_ieee_underflow 0
		.amdhsa_exception_fp_ieee_inexact 0
		.amdhsa_exception_int_div_zero 0
	.end_amdhsa_kernel
	.section	.text._ZN2at6native12_GLOBAL__N_125multi_tensor_apply_kernelINS1_18TensorListMetadataILi3EEENS1_22TernaryOpScalarFunctorIN3c104HalfELi3ELi2ELi2EEEJNS0_11LerpFunctorIfEEfEEEvT_T0_DpT1_,"axG",@progbits,_ZN2at6native12_GLOBAL__N_125multi_tensor_apply_kernelINS1_18TensorListMetadataILi3EEENS1_22TernaryOpScalarFunctorIN3c104HalfELi3ELi2ELi2EEEJNS0_11LerpFunctorIfEEfEEEvT_T0_DpT1_,comdat
.Lfunc_end16:
	.size	_ZN2at6native12_GLOBAL__N_125multi_tensor_apply_kernelINS1_18TensorListMetadataILi3EEENS1_22TernaryOpScalarFunctorIN3c104HalfELi3ELi2ELi2EEEJNS0_11LerpFunctorIfEEfEEEvT_T0_DpT1_, .Lfunc_end16-_ZN2at6native12_GLOBAL__N_125multi_tensor_apply_kernelINS1_18TensorListMetadataILi3EEENS1_22TernaryOpScalarFunctorIN3c104HalfELi3ELi2ELi2EEEJNS0_11LerpFunctorIfEEfEEEvT_T0_DpT1_
                                        ; -- End function
	.set _ZN2at6native12_GLOBAL__N_125multi_tensor_apply_kernelINS1_18TensorListMetadataILi3EEENS1_22TernaryOpScalarFunctorIN3c104HalfELi3ELi2ELi2EEEJNS0_11LerpFunctorIfEEfEEEvT_T0_DpT1_.num_vgpr, 44
	.set _ZN2at6native12_GLOBAL__N_125multi_tensor_apply_kernelINS1_18TensorListMetadataILi3EEENS1_22TernaryOpScalarFunctorIN3c104HalfELi3ELi2ELi2EEEJNS0_11LerpFunctorIfEEfEEEvT_T0_DpT1_.num_agpr, 0
	.set _ZN2at6native12_GLOBAL__N_125multi_tensor_apply_kernelINS1_18TensorListMetadataILi3EEENS1_22TernaryOpScalarFunctorIN3c104HalfELi3ELi2ELi2EEEJNS0_11LerpFunctorIfEEfEEEvT_T0_DpT1_.numbered_sgpr, 31
	.set _ZN2at6native12_GLOBAL__N_125multi_tensor_apply_kernelINS1_18TensorListMetadataILi3EEENS1_22TernaryOpScalarFunctorIN3c104HalfELi3ELi2ELi2EEEJNS0_11LerpFunctorIfEEfEEEvT_T0_DpT1_.num_named_barrier, 0
	.set _ZN2at6native12_GLOBAL__N_125multi_tensor_apply_kernelINS1_18TensorListMetadataILi3EEENS1_22TernaryOpScalarFunctorIN3c104HalfELi3ELi2ELi2EEEJNS0_11LerpFunctorIfEEfEEEvT_T0_DpT1_.private_seg_size, 0
	.set _ZN2at6native12_GLOBAL__N_125multi_tensor_apply_kernelINS1_18TensorListMetadataILi3EEENS1_22TernaryOpScalarFunctorIN3c104HalfELi3ELi2ELi2EEEJNS0_11LerpFunctorIfEEfEEEvT_T0_DpT1_.uses_vcc, 1
	.set _ZN2at6native12_GLOBAL__N_125multi_tensor_apply_kernelINS1_18TensorListMetadataILi3EEENS1_22TernaryOpScalarFunctorIN3c104HalfELi3ELi2ELi2EEEJNS0_11LerpFunctorIfEEfEEEvT_T0_DpT1_.uses_flat_scratch, 0
	.set _ZN2at6native12_GLOBAL__N_125multi_tensor_apply_kernelINS1_18TensorListMetadataILi3EEENS1_22TernaryOpScalarFunctorIN3c104HalfELi3ELi2ELi2EEEJNS0_11LerpFunctorIfEEfEEEvT_T0_DpT1_.has_dyn_sized_stack, 0
	.set _ZN2at6native12_GLOBAL__N_125multi_tensor_apply_kernelINS1_18TensorListMetadataILi3EEENS1_22TernaryOpScalarFunctorIN3c104HalfELi3ELi2ELi2EEEJNS0_11LerpFunctorIfEEfEEEvT_T0_DpT1_.has_recursion, 0
	.set _ZN2at6native12_GLOBAL__N_125multi_tensor_apply_kernelINS1_18TensorListMetadataILi3EEENS1_22TernaryOpScalarFunctorIN3c104HalfELi3ELi2ELi2EEEJNS0_11LerpFunctorIfEEfEEEvT_T0_DpT1_.has_indirect_call, 0
	.section	.AMDGPU.csdata,"",@progbits
; Kernel info:
; codeLenInByte = 1892
; TotalNumSgprs: 35
; NumVgprs: 44
; ScratchSize: 0
; MemoryBound: 0
; FloatMode: 240
; IeeeMode: 1
; LDSByteSize: 0 bytes/workgroup (compile time only)
; SGPRBlocks: 4
; VGPRBlocks: 10
; NumSGPRsForWavesPerEU: 35
; NumVGPRsForWavesPerEU: 44
; Occupancy: 5
; WaveLimiterHint : 0
; COMPUTE_PGM_RSRC2:SCRATCH_EN: 0
; COMPUTE_PGM_RSRC2:USER_SGPR: 6
; COMPUTE_PGM_RSRC2:TRAP_HANDLER: 0
; COMPUTE_PGM_RSRC2:TGID_X_EN: 1
; COMPUTE_PGM_RSRC2:TGID_Y_EN: 0
; COMPUTE_PGM_RSRC2:TGID_Z_EN: 0
; COMPUTE_PGM_RSRC2:TIDIG_COMP_CNT: 0
	.section	.text._ZN2at6native12_GLOBAL__N_125multi_tensor_apply_kernelINS1_18TensorListMetadataILi3EEENS1_22TernaryOpScalarFunctorIN3c108BFloat16ELi3ELi2ELi2EEEJNS0_11LerpFunctorIfEEfEEEvT_T0_DpT1_,"axG",@progbits,_ZN2at6native12_GLOBAL__N_125multi_tensor_apply_kernelINS1_18TensorListMetadataILi3EEENS1_22TernaryOpScalarFunctorIN3c108BFloat16ELi3ELi2ELi2EEEJNS0_11LerpFunctorIfEEfEEEvT_T0_DpT1_,comdat
	.globl	_ZN2at6native12_GLOBAL__N_125multi_tensor_apply_kernelINS1_18TensorListMetadataILi3EEENS1_22TernaryOpScalarFunctorIN3c108BFloat16ELi3ELi2ELi2EEEJNS0_11LerpFunctorIfEEfEEEvT_T0_DpT1_ ; -- Begin function _ZN2at6native12_GLOBAL__N_125multi_tensor_apply_kernelINS1_18TensorListMetadataILi3EEENS1_22TernaryOpScalarFunctorIN3c108BFloat16ELi3ELi2ELi2EEEJNS0_11LerpFunctorIfEEfEEEvT_T0_DpT1_
	.p2align	8
	.type	_ZN2at6native12_GLOBAL__N_125multi_tensor_apply_kernelINS1_18TensorListMetadataILi3EEENS1_22TernaryOpScalarFunctorIN3c108BFloat16ELi3ELi2ELi2EEEJNS0_11LerpFunctorIfEEfEEEvT_T0_DpT1_,@function
_ZN2at6native12_GLOBAL__N_125multi_tensor_apply_kernelINS1_18TensorListMetadataILi3EEENS1_22TernaryOpScalarFunctorIN3c108BFloat16ELi3ELi2ELi2EEEJNS0_11LerpFunctorIfEEfEEEvT_T0_DpT1_: ; @_ZN2at6native12_GLOBAL__N_125multi_tensor_apply_kernelINS1_18TensorListMetadataILi3EEENS1_22TernaryOpScalarFunctorIN3c108BFloat16ELi3ELi2ELi2EEEJNS0_11LerpFunctorIfEEfEEEvT_T0_DpT1_
; %bb.0:
	v_mov_b32_e32 v1, s6
	global_load_ubyte v1, v1, s[4:5] offset:1536
	s_add_u32 s0, s4, s6
	s_mul_hi_u32 s2, s6, 3
	s_mul_i32 s6, s6, 3
	s_addc_u32 s7, s5, 0
	s_add_u32 s6, s0, s6
	s_addc_u32 s7, s7, s2
	s_load_dword s24, s[4:5], 0xc4c
	s_load_dword s12, s[6:7], 0x740
	s_mov_b32 s1, 0
	s_mov_b32 s3, s1
	s_waitcnt lgkmcnt(0)
	s_ashr_i32 s13, s12, 31
	s_lshl_b64 s[10:11], s[12:13], 17
	s_waitcnt vmcnt(0)
	v_readfirstlane_b32 s0, v1
	s_lshl_b32 s0, s0, 3
	s_load_dwordx2 s[6:7], s[4:5], s0 offset:0x480
	s_load_dwordx2 s[18:19], s[4:5], s0 offset:0x0
	;; [unrolled: 1-line block ×4, first 2 shown]
	s_waitcnt lgkmcnt(0)
	s_and_b32 s0, s18, 7
	s_add_u32 s2, s16, s10
	s_or_b32 s2, s8, s2
	s_and_b32 s2, s2, 7
	s_cmp_lg_u32 s2, 0
	s_cselect_b64 s[20:21], -1, 0
	s_lshl_b64 s[12:13], s[12:13], 16
	s_sub_u32 s14, s6, s12
	s_subb_u32 s15, s7, s13
	s_and_b32 s2, s6, 3
	s_or_b64 s[0:1], s[0:1], s[2:3]
	s_cmp_lg_u64 s[0:1], 0
	s_cselect_b64 s[0:1], -1, 0
	s_or_b64 s[0:1], s[20:21], s[0:1]
	s_andn2_b64 vcc, exec, s[0:1]
	s_mov_b64 s[0:1], -1
	s_cbranch_vccz .LBB17_5
; %bb.1:
	v_mov_b32_e32 v1, 0x10000
	v_mov_b32_e32 v2, 0
	v_cmp_lt_i64_e32 vcc, s[14:15], v[1:2]
	v_mov_b32_e32 v2, 0
	s_and_b64 s[0:1], vcc, exec
	s_cselect_b32 s13, s15, 0
	s_cselect_b32 s12, s14, 0x10000
	v_lshlrev_b32_e32 v1, 2, v0
	v_cmp_gt_i64_e32 vcc, s[12:13], v[1:2]
	s_and_saveexec_b64 s[20:21], vcc
	s_cbranch_execz .LBB17_4
; %bb.2:
	s_load_dword s0, s[4:5], 0xc5c
	v_mov_b32_e32 v1, v2
	v_lshlrev_b32_e32 v2, 3, v0
	v_mov_b32_e32 v5, s11
	v_cmp_lt_f32_e64 vcc, |s24|, 0.5
	s_waitcnt lgkmcnt(0)
	s_and_b32 s25, s0, 0xffff
	v_add_co_u32_e64 v4, s[0:1], s10, v2
	v_mov_b32_e32 v2, v1
	v_sub_f32_e64 v3, 1.0, s24
	v_addc_co_u32_e64 v5, s[0:1], 0, v5, s[0:1]
	s_lshl_b32 s26, s25, 3
	s_mov_b64 s[22:23], 0
	v_mov_b32_e32 v6, s19
	v_mov_b32_e32 v7, s17
	s_movk_i32 s27, 0x7fff
	v_mov_b32_e32 v8, 0x7fc0
	v_mov_b32_e32 v9, 0x7fc00000
	;; [unrolled: 1-line block ×4, first 2 shown]
.LBB17_3:                               ; =>This Inner Loop Header: Depth=1
	v_add_co_u32_e64 v11, s[0:1], s18, v4
	v_addc_co_u32_e64 v12, s[0:1], v6, v5, s[0:1]
	v_add_co_u32_e64 v13, s[0:1], s16, v4
	v_addc_co_u32_e64 v14, s[0:1], v7, v5, s[0:1]
	global_load_dwordx2 v[15:16], v[11:12], off
	global_load_dwordx2 v[17:18], v[13:14], off
	v_add_co_u32_e64 v11, s[0:1], s8, v4
	v_addc_co_u32_e64 v12, s[0:1], v10, v5, s[0:1]
	v_add_co_u32_e64 v1, s[0:1], s25, v1
	v_addc_co_u32_e64 v2, s[0:1], 0, v2, s[0:1]
	v_add_co_u32_e64 v4, s[0:1], s26, v4
	v_lshlrev_b64 v[13:14], 2, v[1:2]
	v_addc_co_u32_e64 v5, s[0:1], 0, v5, s[0:1]
	v_cmp_le_i64_e64 s[0:1], s[12:13], v[13:14]
	s_or_b64 s[22:23], s[0:1], s[22:23]
	s_waitcnt vmcnt(1)
	v_lshlrev_b32_e32 v13, 16, v15
	s_waitcnt vmcnt(0)
	v_lshlrev_b32_e32 v14, 16, v17
	v_and_b32_e32 v19, 0xffff0000, v15
	v_and_b32_e32 v20, 0xffff0000, v17
	v_alignbit_b32 v15, v16, v15, 16
	v_alignbit_b32 v17, v18, v17, 16
	v_and_b32_e32 v16, 0xffff0000, v16
	v_and_b32_e32 v18, 0xffff0000, v18
	v_sub_f32_e32 v21, v14, v13
	v_sub_f32_e32 v22, v20, v19
	v_and_b32_e32 v15, 0xffff0000, v15
	v_and_b32_e32 v17, 0xffff0000, v17
	v_sub_f32_e32 v23, v18, v16
	v_fmac_f32_e32 v13, s24, v21
	v_fma_f32 v14, -v3, v21, v14
	v_fmac_f32_e32 v19, s24, v22
	v_fma_f32 v20, -v3, v22, v20
	v_sub_f32_e32 v21, v17, v15
	v_fmac_f32_e32 v16, s24, v23
	v_fma_f32 v18, -v3, v23, v18
	v_cndmask_b32_e32 v13, v14, v13, vcc
	v_cndmask_b32_e32 v14, v20, v19, vcc
	v_fmac_f32_e32 v15, s24, v21
	v_fma_f32 v17, -v3, v21, v17
	v_cndmask_b32_e32 v16, v18, v16, vcc
	v_bfe_u32 v18, v13, 16, 1
	v_bfe_u32 v19, v14, 16, 1
	v_cndmask_b32_e32 v15, v17, v15, vcc
	v_bfe_u32 v17, v16, 16, 1
	v_add3_u32 v18, v13, v18, s27
	v_add3_u32 v19, v14, v19, s27
	v_bfe_u32 v20, v15, 16, 1
	v_add3_u32 v17, v16, v17, s27
	v_lshrrev_b32_e32 v18, 16, v18
	v_and_b32_e32 v19, 0xffff0000, v19
	v_cmp_o_f32_e64 s[0:1], v14, v14
	v_add3_u32 v14, v15, v20, s27
	v_cmp_o_f32_e64 s[6:7], v13, v13
	v_and_b32_e32 v17, 0xffff0000, v17
	v_cmp_o_f32_e64 s[2:3], v16, v16
	v_cndmask_b32_e64 v13, v8, v18, s[6:7]
	v_cndmask_b32_e64 v16, v9, v19, s[0:1]
	v_lshrrev_b32_e32 v14, 16, v14
	v_cmp_o_f32_e64 s[0:1], v15, v15
	v_cndmask_b32_e64 v15, v9, v17, s[2:3]
	v_or_b32_e32 v13, v13, v16
	v_cndmask_b32_e64 v14, v8, v14, s[0:1]
	v_or3_b32 v14, 0, v14, v15
	v_or3_b32 v13, v13, 0, 0
	global_store_dwordx2 v[11:12], v[13:14], off
	s_andn2_b64 exec, exec, s[22:23]
	s_cbranch_execnz .LBB17_3
.LBB17_4:
	s_or_b64 exec, exec, s[20:21]
	s_mov_b64 s[0:1], 0
.LBB17_5:
	s_andn2_b64 vcc, exec, s[0:1]
	s_cbranch_vccnz .LBB17_25
; %bb.6:
	v_cmp_lt_i64_e64 s[0:1], s[14:15], 1
	s_and_b64 vcc, exec, s[0:1]
	s_cbranch_vccnz .LBB17_25
; %bb.7:
	v_mov_b32_e32 v1, 0x10000
	s_load_dword s2, s[4:5], 0xc5c
	v_mov_b32_e32 v2, 0
	v_cmp_lt_i64_e32 vcc, s[14:15], v[1:2]
	v_mov_b32_e32 v3, 0
	s_and_b64 s[0:1], vcc, exec
	s_cselect_b32 s13, s15, 0
	s_cselect_b32 s12, s14, 0x10000
	v_cmp_lt_u64_e32 vcc, s[14:15], v[1:2]
	s_waitcnt lgkmcnt(0)
	s_and_b32 s2, s2, 0xffff
	v_lshlrev_b32_e32 v2, 1, v0
	v_mad_u64_u32 v[3:4], s[0:1], s2, 6, v[2:3]
	s_and_b64 s[0:1], vcc, exec
	v_mov_b32_e32 v6, s19
	v_add_co_u32_e32 v5, vcc, s18, v3
	v_addc_co_u32_e32 v6, vcc, v6, v4, vcc
	v_mov_b32_e32 v8, s17
	v_add_co_u32_e32 v7, vcc, s16, v3
	v_addc_co_u32_e32 v8, vcc, v8, v4, vcc
	v_mov_b32_e32 v10, s9
	v_add_co_u32_e32 v9, vcc, s8, v3
	s_cselect_b32 s15, s15, 0
	s_cselect_b32 s14, s14, 0x10000
	s_lshl_b32 s20, s2, 2
	v_addc_co_u32_e32 v10, vcc, v10, v4, vcc
	v_add_co_u32_e32 v3, vcc, s20, v2
	v_addc_co_u32_e64 v4, s[0:1], 0, 0, vcc
	v_mov_b32_e32 v12, s19
	v_add_co_u32_e32 v11, vcc, s18, v3
	v_addc_co_u32_e32 v12, vcc, v12, v4, vcc
	v_mov_b32_e32 v14, s17
	v_add_co_u32_e32 v13, vcc, s16, v3
	v_addc_co_u32_e32 v14, vcc, v14, v4, vcc
	;; [unrolled: 3-line block ×6, first 2 shown]
	v_add_co_u32_e32 v23, vcc, s2, v0
	v_lshlrev_b32_e32 v1, 1, v23
	s_lshl_b32 s4, s2, 1
	s_mul_i32 s5, s2, 3
	s_lshl_b32 s22, s2, 3
	v_addc_co_u32_e64 v24, s[2:3], 0, 0, vcc
	v_mov_b32_e32 v2, s19
	v_add_co_u32_e32 v25, vcc, s18, v1
	v_addc_co_u32_e32 v26, vcc, 0, v2, vcc
	v_mov_b32_e32 v2, s17
	v_add_co_u32_e32 v27, vcc, s16, v1
	v_addc_co_u32_e32 v28, vcc, 0, v2, vcc
	;; [unrolled: 3-line block ×3, first 2 shown]
	v_add_co_u32_e32 v32, vcc, s5, v0
	v_addc_co_u32_e64 v33, s[2:3], 0, 0, vcc
	v_add_co_u32_e32 v34, vcc, s4, v0
	s_mov_b32 s21, 0
	v_cmp_lt_f32_e64 s[0:1], |s24|, 0.5
	s_mov_b64 s[16:17], 0
	s_movk_i32 s23, 0x7fff
	v_sub_f32_e64 v31, 1.0, s24
	v_addc_co_u32_e64 v35, s[2:3], 0, 0, vcc
	v_mov_b32_e32 v36, 0x7fc0
	s_branch .LBB17_9
.LBB17_8:                               ;   in Loop: Header=BB17_9 Depth=1
	s_or_b64 exec, exec, s[2:3]
	v_add_co_u32_e32 v17, vcc, s22, v17
	v_addc_co_u32_e32 v18, vcc, 0, v18, vcc
	v_add_co_u32_e32 v19, vcc, s22, v19
	v_addc_co_u32_e32 v20, vcc, 0, v20, vcc
	;; [unrolled: 2-line block ×10, first 2 shown]
	s_add_u32 s16, s16, s20
	v_add_co_u32_e32 v27, vcc, s22, v27
	v_mov_b32_e32 v1, s12
	s_addc_u32 s17, s17, 0
	v_addc_co_u32_e32 v28, vcc, 0, v28, vcc
	v_mov_b32_e32 v2, s13
	v_cmp_ge_i64_e32 vcc, s[16:17], v[1:2]
	v_add_co_u32_e64 v29, s[2:3], s22, v29
	v_addc_co_u32_e64 v30, s[2:3], 0, v30, s[2:3]
	s_cbranch_vccnz .LBB17_25
.LBB17_9:                               ; =>This Inner Loop Header: Depth=1
	v_mov_b32_e32 v2, s17
	v_add_co_u32_e32 v1, vcc, s16, v0
	v_addc_co_u32_e32 v2, vcc, 0, v2, vcc
	v_cmp_gt_u64_e32 vcc, s[14:15], v[1:2]
	v_mov_b32_e32 v1, 0
	v_mov_b32_e32 v3, 0
	;; [unrolled: 1-line block ×4, first 2 shown]
	s_and_saveexec_b64 s[4:5], vcc
	s_cbranch_execz .LBB17_11
; %bb.10:                               ;   in Loop: Header=BB17_9 Depth=1
	v_mov_b32_e32 v4, s11
	v_add_co_u32_e64 v1, s[2:3], s10, v19
	v_addc_co_u32_e64 v2, s[2:3], v20, v4, s[2:3]
	v_add_co_u32_e64 v3, s[2:3], s10, v17
	v_addc_co_u32_e64 v4, s[2:3], v18, v4, s[2:3]
	global_load_ushort v37, v[3:4], off
	global_load_ushort v38, v[1:2], off
	v_mov_b32_e32 v4, s21
	v_mov_b32_e32 v2, s21
	s_waitcnt vmcnt(1)
	v_and_b32_e32 v3, 0xffff, v37
	s_waitcnt vmcnt(0)
	v_and_b32_e32 v1, 0xffff, v38
.LBB17_11:                              ;   in Loop: Header=BB17_9 Depth=1
	s_or_b64 exec, exec, s[4:5]
	v_mov_b32_e32 v38, s17
	v_add_co_u32_e64 v37, s[2:3], s16, v23
	v_addc_co_u32_e64 v38, s[2:3], v24, v38, s[2:3]
	v_cmp_gt_u64_e64 s[2:3], s[14:15], v[37:38]
	s_and_saveexec_b64 s[6:7], s[2:3]
	s_cbranch_execz .LBB17_13
; %bb.12:                               ;   in Loop: Header=BB17_9 Depth=1
	v_mov_b32_e32 v39, s11
	v_add_co_u32_e64 v37, s[4:5], s10, v25
	v_addc_co_u32_e64 v38, s[4:5], v26, v39, s[4:5]
	global_load_ushort v40, v[37:38], off
	v_add_co_u32_e64 v37, s[4:5], s10, v27
	v_addc_co_u32_e64 v38, s[4:5], v28, v39, s[4:5]
	global_load_ushort v37, v[37:38], off
	s_waitcnt vmcnt(1)
	v_lshl_or_b32 v3, v40, 16, v3
	s_waitcnt vmcnt(0)
	v_lshl_or_b32 v1, v37, 16, v1
.LBB17_13:                              ;   in Loop: Header=BB17_9 Depth=1
	s_or_b64 exec, exec, s[6:7]
	v_mov_b32_e32 v38, s17
	v_add_co_u32_e64 v37, s[4:5], s16, v34
	v_addc_co_u32_e64 v38, s[4:5], v35, v38, s[4:5]
	v_cmp_gt_u64_e64 s[4:5], s[14:15], v[37:38]
	v_cmp_le_u64_e64 s[6:7], s[14:15], v[37:38]
	s_and_saveexec_b64 s[8:9], s[6:7]
	s_xor_b64 s[6:7], exec, s[8:9]
	s_andn2_saveexec_b64 s[8:9], s[6:7]
	s_cbranch_execz .LBB17_15
; %bb.14:                               ;   in Loop: Header=BB17_9 Depth=1
	v_mov_b32_e32 v39, s11
	v_add_co_u32_e64 v37, s[6:7], s10, v11
	v_addc_co_u32_e64 v38, s[6:7], v12, v39, s[6:7]
	global_load_ushort v40, v[37:38], off
	v_add_co_u32_e64 v37, s[6:7], s10, v13
	v_addc_co_u32_e64 v38, s[6:7], v14, v39, s[6:7]
	global_load_ushort v37, v[37:38], off
	s_waitcnt vmcnt(1)
	v_or_b32_e32 v4, v40, v4
	s_waitcnt vmcnt(0)
	v_or_b32_e32 v2, v37, v2
.LBB17_15:                              ;   in Loop: Header=BB17_9 Depth=1
	s_or_b64 exec, exec, s[8:9]
	v_mov_b32_e32 v38, s17
	v_add_co_u32_e64 v37, s[6:7], s16, v32
	v_addc_co_u32_e64 v38, s[6:7], v33, v38, s[6:7]
	v_cmp_gt_u64_e64 s[6:7], s[14:15], v[37:38]
	s_and_saveexec_b64 s[18:19], s[6:7]
	s_cbranch_execnz .LBB17_20
; %bb.16:                               ;   in Loop: Header=BB17_9 Depth=1
	s_or_b64 exec, exec, s[18:19]
	s_and_saveexec_b64 s[8:9], vcc
	s_cbranch_execnz .LBB17_21
.LBB17_17:                              ;   in Loop: Header=BB17_9 Depth=1
	s_or_b64 exec, exec, s[8:9]
	s_and_saveexec_b64 s[8:9], s[2:3]
	s_cbranch_execnz .LBB17_22
.LBB17_18:                              ;   in Loop: Header=BB17_9 Depth=1
	s_or_b64 exec, exec, s[8:9]
	s_and_saveexec_b64 s[2:3], s[4:5]
	s_cbranch_execnz .LBB17_23
.LBB17_19:                              ;   in Loop: Header=BB17_9 Depth=1
	s_or_b64 exec, exec, s[2:3]
	s_and_saveexec_b64 s[2:3], s[6:7]
	s_cbranch_execz .LBB17_8
	s_branch .LBB17_24
.LBB17_20:                              ;   in Loop: Header=BB17_9 Depth=1
	v_mov_b32_e32 v39, s11
	v_add_co_u32_e64 v37, s[8:9], s10, v5
	v_addc_co_u32_e64 v38, s[8:9], v6, v39, s[8:9]
	global_load_ushort v40, v[37:38], off
	v_add_co_u32_e64 v37, s[8:9], s10, v7
	v_addc_co_u32_e64 v38, s[8:9], v8, v39, s[8:9]
	global_load_ushort v37, v[37:38], off
	v_add_co_u32_e64 v1, s[8:9], 0, v1
	s_waitcnt vmcnt(1)
	v_lshlrev_b32_e32 v38, 16, v40
	v_or_b32_e32 v4, v38, v4
	s_waitcnt vmcnt(0)
	v_lshlrev_b32_e32 v37, 16, v37
	v_addc_co_u32_e64 v2, s[8:9], v37, v2, s[8:9]
	s_or_b64 exec, exec, s[18:19]
	s_and_saveexec_b64 s[8:9], vcc
	s_cbranch_execz .LBB17_17
.LBB17_21:                              ;   in Loop: Header=BB17_9 Depth=1
	v_lshlrev_b32_e32 v37, 16, v1
	v_lshlrev_b32_e32 v38, 16, v3
	v_sub_f32_e32 v39, v37, v38
	v_fmac_f32_e32 v38, s24, v39
	v_fma_f32 v37, -v31, v39, v37
	v_cndmask_b32_e64 v39, v37, v38, s[0:1]
	v_bfe_u32 v37, v39, 16, 1
	v_add3_u32 v40, v39, v37, s23
	v_mov_b32_e32 v38, s11
	v_add_co_u32_e32 v37, vcc, s10, v21
	v_addc_co_u32_e32 v38, vcc, v22, v38, vcc
	v_cmp_o_f32_e32 vcc, v39, v39
	v_cndmask_b32_sdwa v39, v36, v40, vcc dst_sel:DWORD dst_unused:UNUSED_PAD src0_sel:DWORD src1_sel:WORD_1
	global_store_short v[37:38], v39, off
	s_or_b64 exec, exec, s[8:9]
	s_and_saveexec_b64 s[8:9], s[2:3]
	s_cbranch_execz .LBB17_18
.LBB17_22:                              ;   in Loop: Header=BB17_9 Depth=1
	v_and_b32_e32 v37, 0xffff0000, v3
	v_and_b32_e32 v38, 0xffff0000, v1
	v_sub_f32_e32 v39, v38, v37
	v_fmac_f32_e32 v37, s24, v39
	v_fma_f32 v38, -v31, v39, v38
	v_cndmask_b32_e64 v37, v38, v37, s[0:1]
	v_bfe_u32 v38, v37, 16, 1
	v_add3_u32 v38, v37, v38, s23
	v_cmp_o_f32_e32 vcc, v37, v37
	v_cndmask_b32_sdwa v39, v36, v38, vcc dst_sel:DWORD dst_unused:UNUSED_PAD src0_sel:DWORD src1_sel:WORD_1
	v_mov_b32_e32 v38, s11
	v_add_co_u32_e32 v37, vcc, s10, v29
	v_addc_co_u32_e32 v38, vcc, v30, v38, vcc
	global_store_short v[37:38], v39, off
	s_or_b64 exec, exec, s[8:9]
	s_and_saveexec_b64 s[2:3], s[4:5]
	s_cbranch_execz .LBB17_19
.LBB17_23:                              ;   in Loop: Header=BB17_9 Depth=1
	v_alignbit_b32 v3, v4, v3, 16
	v_alignbit_b32 v1, v2, v1, 16
	v_and_b32_e32 v3, 0xffff0000, v3
	v_and_b32_e32 v1, 0xffff0000, v1
	v_sub_f32_e32 v37, v1, v3
	v_fmac_f32_e32 v3, s24, v37
	v_fma_f32 v1, -v31, v37, v1
	v_cndmask_b32_e64 v1, v1, v3, s[0:1]
	v_bfe_u32 v3, v1, 16, 1
	v_add3_u32 v3, v1, v3, s23
	v_cmp_o_f32_e32 vcc, v1, v1
	v_cndmask_b32_sdwa v1, v36, v3, vcc dst_sel:DWORD dst_unused:UNUSED_PAD src0_sel:DWORD src1_sel:WORD_1
	v_mov_b32_e32 v3, s11
	v_add_co_u32_e32 v37, vcc, s10, v15
	v_addc_co_u32_e32 v38, vcc, v16, v3, vcc
	global_store_short v[37:38], v1, off
	s_or_b64 exec, exec, s[2:3]
	s_and_saveexec_b64 s[2:3], s[6:7]
	s_cbranch_execz .LBB17_8
.LBB17_24:                              ;   in Loop: Header=BB17_9 Depth=1
	v_and_b32_e32 v1, 0xffff0000, v4
	v_and_b32_e32 v2, 0xffff0000, v2
	v_sub_f32_e32 v3, v2, v1
	v_fmac_f32_e32 v1, s24, v3
	v_fma_f32 v2, -v31, v3, v2
	v_cndmask_b32_e64 v1, v2, v1, s[0:1]
	v_bfe_u32 v2, v1, 16, 1
	v_add3_u32 v2, v1, v2, s23
	v_cmp_o_f32_e32 vcc, v1, v1
	v_cndmask_b32_sdwa v3, v36, v2, vcc dst_sel:DWORD dst_unused:UNUSED_PAD src0_sel:DWORD src1_sel:WORD_1
	v_mov_b32_e32 v2, s11
	v_add_co_u32_e32 v1, vcc, s10, v9
	v_addc_co_u32_e32 v2, vcc, v10, v2, vcc
	global_store_short v[1:2], v3, off
	s_branch .LBB17_8
.LBB17_25:
	s_endpgm
	.section	.rodata,"a",@progbits
	.p2align	6, 0x0
	.amdhsa_kernel _ZN2at6native12_GLOBAL__N_125multi_tensor_apply_kernelINS1_18TensorListMetadataILi3EEENS1_22TernaryOpScalarFunctorIN3c108BFloat16ELi3ELi2ELi2EEEJNS0_11LerpFunctorIfEEfEEEvT_T0_DpT1_
		.amdhsa_group_segment_fixed_size 0
		.amdhsa_private_segment_fixed_size 0
		.amdhsa_kernarg_size 3408
		.amdhsa_user_sgpr_count 6
		.amdhsa_user_sgpr_private_segment_buffer 1
		.amdhsa_user_sgpr_dispatch_ptr 0
		.amdhsa_user_sgpr_queue_ptr 0
		.amdhsa_user_sgpr_kernarg_segment_ptr 1
		.amdhsa_user_sgpr_dispatch_id 0
		.amdhsa_user_sgpr_flat_scratch_init 0
		.amdhsa_user_sgpr_private_segment_size 0
		.amdhsa_uses_dynamic_stack 0
		.amdhsa_system_sgpr_private_segment_wavefront_offset 0
		.amdhsa_system_sgpr_workgroup_id_x 1
		.amdhsa_system_sgpr_workgroup_id_y 0
		.amdhsa_system_sgpr_workgroup_id_z 0
		.amdhsa_system_sgpr_workgroup_info 0
		.amdhsa_system_vgpr_workitem_id 0
		.amdhsa_next_free_vgpr 41
		.amdhsa_next_free_sgpr 28
		.amdhsa_reserve_vcc 1
		.amdhsa_reserve_flat_scratch 0
		.amdhsa_float_round_mode_32 0
		.amdhsa_float_round_mode_16_64 0
		.amdhsa_float_denorm_mode_32 3
		.amdhsa_float_denorm_mode_16_64 3
		.amdhsa_dx10_clamp 1
		.amdhsa_ieee_mode 1
		.amdhsa_fp16_overflow 0
		.amdhsa_exception_fp_ieee_invalid_op 0
		.amdhsa_exception_fp_denorm_src 0
		.amdhsa_exception_fp_ieee_div_zero 0
		.amdhsa_exception_fp_ieee_overflow 0
		.amdhsa_exception_fp_ieee_underflow 0
		.amdhsa_exception_fp_ieee_inexact 0
		.amdhsa_exception_int_div_zero 0
	.end_amdhsa_kernel
	.section	.text._ZN2at6native12_GLOBAL__N_125multi_tensor_apply_kernelINS1_18TensorListMetadataILi3EEENS1_22TernaryOpScalarFunctorIN3c108BFloat16ELi3ELi2ELi2EEEJNS0_11LerpFunctorIfEEfEEEvT_T0_DpT1_,"axG",@progbits,_ZN2at6native12_GLOBAL__N_125multi_tensor_apply_kernelINS1_18TensorListMetadataILi3EEENS1_22TernaryOpScalarFunctorIN3c108BFloat16ELi3ELi2ELi2EEEJNS0_11LerpFunctorIfEEfEEEvT_T0_DpT1_,comdat
.Lfunc_end17:
	.size	_ZN2at6native12_GLOBAL__N_125multi_tensor_apply_kernelINS1_18TensorListMetadataILi3EEENS1_22TernaryOpScalarFunctorIN3c108BFloat16ELi3ELi2ELi2EEEJNS0_11LerpFunctorIfEEfEEEvT_T0_DpT1_, .Lfunc_end17-_ZN2at6native12_GLOBAL__N_125multi_tensor_apply_kernelINS1_18TensorListMetadataILi3EEENS1_22TernaryOpScalarFunctorIN3c108BFloat16ELi3ELi2ELi2EEEJNS0_11LerpFunctorIfEEfEEEvT_T0_DpT1_
                                        ; -- End function
	.set _ZN2at6native12_GLOBAL__N_125multi_tensor_apply_kernelINS1_18TensorListMetadataILi3EEENS1_22TernaryOpScalarFunctorIN3c108BFloat16ELi3ELi2ELi2EEEJNS0_11LerpFunctorIfEEfEEEvT_T0_DpT1_.num_vgpr, 41
	.set _ZN2at6native12_GLOBAL__N_125multi_tensor_apply_kernelINS1_18TensorListMetadataILi3EEENS1_22TernaryOpScalarFunctorIN3c108BFloat16ELi3ELi2ELi2EEEJNS0_11LerpFunctorIfEEfEEEvT_T0_DpT1_.num_agpr, 0
	.set _ZN2at6native12_GLOBAL__N_125multi_tensor_apply_kernelINS1_18TensorListMetadataILi3EEENS1_22TernaryOpScalarFunctorIN3c108BFloat16ELi3ELi2ELi2EEEJNS0_11LerpFunctorIfEEfEEEvT_T0_DpT1_.numbered_sgpr, 28
	.set _ZN2at6native12_GLOBAL__N_125multi_tensor_apply_kernelINS1_18TensorListMetadataILi3EEENS1_22TernaryOpScalarFunctorIN3c108BFloat16ELi3ELi2ELi2EEEJNS0_11LerpFunctorIfEEfEEEvT_T0_DpT1_.num_named_barrier, 0
	.set _ZN2at6native12_GLOBAL__N_125multi_tensor_apply_kernelINS1_18TensorListMetadataILi3EEENS1_22TernaryOpScalarFunctorIN3c108BFloat16ELi3ELi2ELi2EEEJNS0_11LerpFunctorIfEEfEEEvT_T0_DpT1_.private_seg_size, 0
	.set _ZN2at6native12_GLOBAL__N_125multi_tensor_apply_kernelINS1_18TensorListMetadataILi3EEENS1_22TernaryOpScalarFunctorIN3c108BFloat16ELi3ELi2ELi2EEEJNS0_11LerpFunctorIfEEfEEEvT_T0_DpT1_.uses_vcc, 1
	.set _ZN2at6native12_GLOBAL__N_125multi_tensor_apply_kernelINS1_18TensorListMetadataILi3EEENS1_22TernaryOpScalarFunctorIN3c108BFloat16ELi3ELi2ELi2EEEJNS0_11LerpFunctorIfEEfEEEvT_T0_DpT1_.uses_flat_scratch, 0
	.set _ZN2at6native12_GLOBAL__N_125multi_tensor_apply_kernelINS1_18TensorListMetadataILi3EEENS1_22TernaryOpScalarFunctorIN3c108BFloat16ELi3ELi2ELi2EEEJNS0_11LerpFunctorIfEEfEEEvT_T0_DpT1_.has_dyn_sized_stack, 0
	.set _ZN2at6native12_GLOBAL__N_125multi_tensor_apply_kernelINS1_18TensorListMetadataILi3EEENS1_22TernaryOpScalarFunctorIN3c108BFloat16ELi3ELi2ELi2EEEJNS0_11LerpFunctorIfEEfEEEvT_T0_DpT1_.has_recursion, 0
	.set _ZN2at6native12_GLOBAL__N_125multi_tensor_apply_kernelINS1_18TensorListMetadataILi3EEENS1_22TernaryOpScalarFunctorIN3c108BFloat16ELi3ELi2ELi2EEEJNS0_11LerpFunctorIfEEfEEEvT_T0_DpT1_.has_indirect_call, 0
	.section	.AMDGPU.csdata,"",@progbits
; Kernel info:
; codeLenInByte = 2280
; TotalNumSgprs: 32
; NumVgprs: 41
; ScratchSize: 0
; MemoryBound: 0
; FloatMode: 240
; IeeeMode: 1
; LDSByteSize: 0 bytes/workgroup (compile time only)
; SGPRBlocks: 3
; VGPRBlocks: 10
; NumSGPRsForWavesPerEU: 32
; NumVGPRsForWavesPerEU: 41
; Occupancy: 5
; WaveLimiterHint : 0
; COMPUTE_PGM_RSRC2:SCRATCH_EN: 0
; COMPUTE_PGM_RSRC2:USER_SGPR: 6
; COMPUTE_PGM_RSRC2:TRAP_HANDLER: 0
; COMPUTE_PGM_RSRC2:TGID_X_EN: 1
; COMPUTE_PGM_RSRC2:TGID_Y_EN: 0
; COMPUTE_PGM_RSRC2:TGID_Z_EN: 0
; COMPUTE_PGM_RSRC2:TIDIG_COMP_CNT: 0
	.section	.text._ZN2at6native12_GLOBAL__N_125multi_tensor_apply_kernelINS1_18TensorListMetadataILi2EEENS1_22TernaryOpScalarFunctorIdLi2ELi2ELi0EEEJNS0_11LerpFunctorIdEEdEEEvT_T0_DpT1_,"axG",@progbits,_ZN2at6native12_GLOBAL__N_125multi_tensor_apply_kernelINS1_18TensorListMetadataILi2EEENS1_22TernaryOpScalarFunctorIdLi2ELi2ELi0EEEJNS0_11LerpFunctorIdEEdEEEvT_T0_DpT1_,comdat
	.globl	_ZN2at6native12_GLOBAL__N_125multi_tensor_apply_kernelINS1_18TensorListMetadataILi2EEENS1_22TernaryOpScalarFunctorIdLi2ELi2ELi0EEEJNS0_11LerpFunctorIdEEdEEEvT_T0_DpT1_ ; -- Begin function _ZN2at6native12_GLOBAL__N_125multi_tensor_apply_kernelINS1_18TensorListMetadataILi2EEENS1_22TernaryOpScalarFunctorIdLi2ELi2ELi0EEEJNS0_11LerpFunctorIdEEdEEEvT_T0_DpT1_
	.p2align	8
	.type	_ZN2at6native12_GLOBAL__N_125multi_tensor_apply_kernelINS1_18TensorListMetadataILi2EEENS1_22TernaryOpScalarFunctorIdLi2ELi2ELi0EEEJNS0_11LerpFunctorIdEEdEEEvT_T0_DpT1_,@function
_ZN2at6native12_GLOBAL__N_125multi_tensor_apply_kernelINS1_18TensorListMetadataILi2EEENS1_22TernaryOpScalarFunctorIdLi2ELi2ELi0EEEJNS0_11LerpFunctorIdEEdEEEvT_T0_DpT1_: ; @_ZN2at6native12_GLOBAL__N_125multi_tensor_apply_kernelINS1_18TensorListMetadataILi2EEENS1_22TernaryOpScalarFunctorIdLi2ELi2ELi0EEEJNS0_11LerpFunctorIdEEdEEEvT_T0_DpT1_
; %bb.0:
	v_mov_b32_e32 v1, s6
	global_load_ubyte v1, v1, s[4:5] offset:1536
	s_add_u32 s0, s4, s6
	s_mul_hi_u32 s3, s6, 3
	s_mul_i32 s6, s6, 3
	s_addc_u32 s7, s5, 0
	s_add_u32 s2, s0, s6
	s_addc_u32 s3, s7, s3
	s_load_dword s8, s[2:3], 0x740
	s_mov_b32 s1, 0
	s_mov_b32 s15, s1
	s_waitcnt lgkmcnt(0)
	s_ashr_i32 s9, s8, 31
	s_lshl_b64 s[12:13], s[8:9], 19
	s_lshl_b64 s[8:9], s[8:9], 16
	s_waitcnt vmcnt(0)
	v_readfirstlane_b32 s0, v1
	s_lshl_b32 s0, s0, 3
	s_load_dwordx2 s[10:11], s[4:5], 0xc50
	s_load_dwordx2 s[16:17], s[4:5], s0 offset:0x400
	s_load_dwordx2 s[6:7], s[4:5], s0 offset:0x0
	;; [unrolled: 1-line block ×3, first 2 shown]
	s_waitcnt lgkmcnt(0)
	s_add_u32 s0, s6, s12
	s_and_b32 s14, s2, 31
	s_and_b32 s0, s0, 31
	s_sub_u32 s8, s16, s8
	s_subb_u32 s9, s17, s9
	s_and_b32 s16, s16, 3
	s_mov_b32 s17, s1
	s_or_b64 s[14:15], s[14:15], s[16:17]
	s_or_b64 s[0:1], s[14:15], s[0:1]
	s_cmp_eq_u64 s[0:1], 0
	s_mov_b64 s[0:1], -1
	s_cbranch_scc0 .LBB18_5
; %bb.1:
	v_mov_b32_e32 v1, 0x10000
	v_mov_b32_e32 v2, 0
	v_cmp_lt_i64_e32 vcc, s[8:9], v[1:2]
	v_mov_b32_e32 v2, 0
	s_and_b64 s[0:1], vcc, exec
	s_cselect_b32 s15, s9, 0
	s_cselect_b32 s14, s8, 0x10000
	v_lshlrev_b32_e32 v1, 2, v0
	v_cmp_gt_i64_e32 vcc, s[14:15], v[1:2]
	s_and_saveexec_b64 s[16:17], vcc
	s_cbranch_execz .LBB18_4
; %bb.2:
	s_load_dword s0, s[4:5], 0xc64
	v_mov_b32_e32 v1, v2
	v_cmp_lt_f64_e64 vcc, |s[10:11]|, 0.5
	v_add_f64 v[2:3], -s[10:11], 1.0
	v_lshlrev_b32_e32 v4, 5, v0
	s_waitcnt lgkmcnt(0)
	s_and_b32 s20, s0, 0xffff
	v_mov_b32_e32 v5, s13
	v_add_co_u32_e64 v6, s[0:1], s12, v4
	v_addc_co_u32_e64 v7, s[0:1], 0, v5, s[0:1]
	v_mov_b32_e32 v5, v1
	s_lshl_b32 s21, s20, 5
	s_mov_b64 s[18:19], 0
	v_mov_b32_e32 v8, s7
	v_mov_b32_e32 v9, s3
	;; [unrolled: 1-line block ×3, first 2 shown]
.LBB18_3:                               ; =>This Inner Loop Header: Depth=1
	v_add_co_u32_e64 v26, s[0:1], s6, v6
	v_addc_co_u32_e64 v27, s[0:1], v8, v7, s[0:1]
	v_add_co_u32_e64 v28, s[0:1], s2, v6
	v_addc_co_u32_e64 v29, s[0:1], v9, v7, s[0:1]
	global_load_dwordx4 v[10:13], v[28:29], off
	global_load_dwordx4 v[14:17], v[26:27], off
	global_load_dwordx4 v[18:21], v[26:27], off offset:16
	global_load_dwordx4 v[22:25], v[28:29], off offset:16
	v_add_co_u32_e64 v4, s[0:1], s20, v4
	v_addc_co_u32_e64 v5, s[0:1], 0, v5, s[0:1]
	v_add_co_u32_e64 v6, s[0:1], s21, v6
	v_lshlrev_b64 v[28:29], 2, v[4:5]
	v_addc_co_u32_e64 v7, s[0:1], 0, v7, s[0:1]
	v_cmp_le_i64_e64 s[0:1], s[14:15], v[28:29]
	s_or_b64 s[18:19], s[0:1], s[18:19]
	s_waitcnt vmcnt(2)
	v_add_f64 v[28:29], v[10:11], -v[14:15]
	v_add_f64 v[30:31], v[12:13], -v[16:17]
	s_waitcnt vmcnt(0)
	v_add_f64 v[32:33], v[22:23], -v[18:19]
	v_add_f64 v[34:35], v[24:25], -v[20:21]
	v_fma_f64 v[14:15], s[10:11], v[28:29], v[14:15]
	v_fma_f64 v[10:11], -v[2:3], v[28:29], v[10:11]
	v_fma_f64 v[16:17], s[10:11], v[30:31], v[16:17]
	v_fma_f64 v[12:13], -v[2:3], v[30:31], v[12:13]
	;; [unrolled: 2-line block ×4, first 2 shown]
	v_cndmask_b32_e32 v11, v11, v15, vcc
	v_cndmask_b32_e32 v10, v10, v14, vcc
	;; [unrolled: 1-line block ×8, first 2 shown]
	global_store_dwordx4 v[26:27], v[10:13], off
	global_store_dwordx4 v[26:27], v[14:17], off offset:16
	s_andn2_b64 exec, exec, s[18:19]
	s_cbranch_execnz .LBB18_3
.LBB18_4:
	s_or_b64 exec, exec, s[16:17]
	s_mov_b64 s[0:1], 0
.LBB18_5:
	s_andn2_b64 vcc, exec, s[0:1]
	s_cbranch_vccnz .LBB18_25
; %bb.6:
	v_cmp_lt_i64_e64 s[0:1], s[8:9], 1
	s_and_b64 vcc, exec, s[0:1]
	s_cbranch_vccnz .LBB18_25
; %bb.7:
	v_mov_b32_e32 v1, 0x10000
	s_load_dword s4, s[4:5], 0xc64
	v_mov_b32_e32 v2, 0
	v_cmp_lt_i64_e32 vcc, s[8:9], v[1:2]
	v_mov_b32_e32 v3, 0
	s_and_b64 s[0:1], vcc, exec
	v_cmp_lt_u64_e32 vcc, s[8:9], v[1:2]
	s_cselect_b32 s15, s9, 0
	s_cselect_b32 s14, s8, 0x10000
	s_waitcnt lgkmcnt(0)
	s_and_b32 s18, s4, 0xffff
	v_lshlrev_b32_e32 v2, 3, v0
	s_and_b64 s[0:1], vcc, exec
	v_mov_b32_e32 v1, s7
	v_add_co_u32_e32 v19, vcc, s6, v2
	v_mad_u64_u32 v[3:4], s[4:5], s18, 24, v[2:3]
	v_addc_co_u32_e32 v20, vcc, 0, v1, vcc
	v_mov_b32_e32 v1, s3
	v_add_co_u32_e32 v21, vcc, s2, v2
	v_addc_co_u32_e32 v22, vcc, 0, v1, vcc
	v_mov_b32_e32 v1, s7
	v_add_co_u32_e32 v23, vcc, s6, v3
	v_addc_co_u32_e32 v24, vcc, v1, v4, vcc
	v_mov_b32_e32 v1, s3
	v_add_co_u32_e32 v25, vcc, s2, v3
	s_cselect_b32 s17, s9, 0
	s_cselect_b32 s16, s8, 0x10000
	v_addc_co_u32_e32 v26, vcc, v1, v4, vcc
	s_lshl_b32 s4, s18, 4
	v_add_co_u32_e32 v1, vcc, s4, v2
	v_addc_co_u32_e64 v2, s[4:5], 0, 0, vcc
	v_mov_b32_e32 v3, s7
	v_add_co_u32_e32 v27, vcc, s6, v1
	v_addc_co_u32_e32 v28, vcc, v3, v2, vcc
	v_mov_b32_e32 v3, s3
	v_add_co_u32_e32 v29, vcc, s2, v1
	v_addc_co_u32_e32 v30, vcc, v3, v2, vcc
	v_add_co_u32_e32 v31, vcc, s18, v0
	v_lshlrev_b32_e32 v1, 3, v31
	v_addc_co_u32_e64 v32, s[4:5], 0, 0, vcc
	v_mov_b32_e32 v2, s7
	v_add_co_u32_e32 v33, vcc, s6, v1
	v_addc_co_u32_e32 v34, vcc, 0, v2, vcc
	v_mov_b32_e32 v2, s3
	v_add_co_u32_e32 v35, vcc, s2, v1
	v_cmp_lt_f64_e64 s[0:1], |s[10:11]|, 0.5
	v_addc_co_u32_e32 v36, vcc, 0, v2, vcc
	v_add_f64 v[1:2], -s[10:11], 1.0
	s_mul_i32 s9, s18, 3
	s_lshl_b32 s8, s18, 1
	v_add_co_u32_e32 v37, vcc, s9, v0
	v_addc_co_u32_e64 v38, s[2:3], 0, 0, vcc
	v_add_co_u32_e32 v39, vcc, s8, v0
	s_lshl_b32 s22, s18, 2
	s_lshl_b32 s23, s18, 5
	s_mov_b64 s[18:19], 0
	v_addc_co_u32_e64 v40, s[2:3], 0, 0, vcc
	s_branch .LBB18_9
.LBB18_8:                               ;   in Loop: Header=BB18_9 Depth=1
	s_or_b64 exec, exec, s[2:3]
	v_add_co_u32_e32 v19, vcc, s23, v19
	v_addc_co_u32_e32 v20, vcc, 0, v20, vcc
	v_add_co_u32_e32 v21, vcc, s23, v21
	v_addc_co_u32_e32 v22, vcc, 0, v22, vcc
	v_add_co_u32_e32 v23, vcc, s23, v23
	v_addc_co_u32_e32 v24, vcc, 0, v24, vcc
	v_add_co_u32_e32 v25, vcc, s23, v25
	v_addc_co_u32_e32 v26, vcc, 0, v26, vcc
	v_add_co_u32_e32 v27, vcc, s23, v27
	v_addc_co_u32_e32 v28, vcc, 0, v28, vcc
	v_add_co_u32_e32 v29, vcc, s23, v29
	v_addc_co_u32_e32 v30, vcc, 0, v30, vcc
	s_add_u32 s18, s18, s22
	v_add_co_u32_e32 v33, vcc, s23, v33
	s_waitcnt vmcnt(0)
	v_mov_b32_e32 v3, s14
	s_addc_u32 s19, s19, 0
	v_addc_co_u32_e32 v34, vcc, 0, v34, vcc
	v_mov_b32_e32 v4, s15
	v_cmp_ge_i64_e32 vcc, s[18:19], v[3:4]
	v_add_co_u32_e64 v35, s[2:3], s23, v35
	v_addc_co_u32_e64 v36, s[2:3], 0, v36, s[2:3]
	s_cbranch_vccnz .LBB18_25
.LBB18_9:                               ; =>This Inner Loop Header: Depth=1
	v_mov_b32_e32 v4, s19
	v_add_co_u32_e32 v3, vcc, s18, v0
	v_addc_co_u32_e32 v4, vcc, 0, v4, vcc
	v_cmp_gt_u64_e32 vcc, s[16:17], v[3:4]
	v_mov_b32_e32 v3, 0
	v_mov_b32_e32 v7, 0
	;; [unrolled: 1-line block ×6, first 2 shown]
	s_and_saveexec_b64 s[4:5], vcc
	s_cbranch_execz .LBB18_11
; %bb.10:                               ;   in Loop: Header=BB18_9 Depth=1
	v_mov_b32_e32 v7, s13
	v_add_co_u32_e64 v5, s[2:3], s12, v21
	v_addc_co_u32_e64 v6, s[2:3], v22, v7, s[2:3]
	v_add_co_u32_e64 v11, s[2:3], s12, v19
	v_addc_co_u32_e64 v12, s[2:3], v20, v7, s[2:3]
	global_load_dwordx2 v[9:10], v[11:12], off
	global_load_dwordx2 v[7:8], v[5:6], off
.LBB18_11:                              ;   in Loop: Header=BB18_9 Depth=1
	s_or_b64 exec, exec, s[4:5]
	v_mov_b32_e32 v6, s19
	v_add_co_u32_e64 v5, s[2:3], s18, v31
	v_addc_co_u32_e64 v6, s[2:3], v32, v6, s[2:3]
	v_cmp_gt_u64_e64 s[2:3], s[16:17], v[5:6]
	v_mov_b32_e32 v11, 0
	v_mov_b32_e32 v12, 0
	s_and_saveexec_b64 s[6:7], s[2:3]
	s_cbranch_execz .LBB18_13
; %bb.12:                               ;   in Loop: Header=BB18_9 Depth=1
	v_mov_b32_e32 v3, s13
	v_add_co_u32_e64 v5, s[4:5], s12, v35
	v_addc_co_u32_e64 v6, s[4:5], v36, v3, s[4:5]
	v_add_co_u32_e64 v13, s[4:5], s12, v33
	v_addc_co_u32_e64 v14, s[4:5], v34, v3, s[4:5]
	global_load_dwordx2 v[11:12], v[13:14], off
	global_load_dwordx2 v[3:4], v[5:6], off
.LBB18_13:                              ;   in Loop: Header=BB18_9 Depth=1
	s_or_b64 exec, exec, s[6:7]
	v_mov_b32_e32 v6, s19
	v_add_co_u32_e64 v5, s[4:5], s18, v39
	v_addc_co_u32_e64 v6, s[4:5], v40, v6, s[4:5]
	v_cmp_gt_u64_e64 s[4:5], s[16:17], v[5:6]
	v_mov_b32_e32 v5, 0
	v_mov_b32_e32 v13, 0
	;; [unrolled: 1-line block ×6, first 2 shown]
	s_and_saveexec_b64 s[8:9], s[4:5]
	s_cbranch_execz .LBB18_15
; %bb.14:                               ;   in Loop: Header=BB18_9 Depth=1
	v_mov_b32_e32 v13, s13
	v_add_co_u32_e64 v17, s[6:7], s12, v29
	v_addc_co_u32_e64 v18, s[6:7], v30, v13, s[6:7]
	v_add_co_u32_e64 v41, s[6:7], s12, v27
	v_addc_co_u32_e64 v42, s[6:7], v28, v13, s[6:7]
	global_load_dwordx2 v[15:16], v[41:42], off
	global_load_dwordx2 v[13:14], v[17:18], off
.LBB18_15:                              ;   in Loop: Header=BB18_9 Depth=1
	s_or_b64 exec, exec, s[8:9]
	v_mov_b32_e32 v18, s19
	v_add_co_u32_e64 v17, s[6:7], s18, v37
	v_addc_co_u32_e64 v18, s[6:7], v38, v18, s[6:7]
	v_cmp_gt_u64_e64 s[6:7], s[16:17], v[17:18]
	v_mov_b32_e32 v17, 0
	v_mov_b32_e32 v18, 0
	s_and_saveexec_b64 s[20:21], s[6:7]
	s_cbranch_execnz .LBB18_20
; %bb.16:                               ;   in Loop: Header=BB18_9 Depth=1
	s_or_b64 exec, exec, s[20:21]
	s_and_saveexec_b64 s[8:9], vcc
	s_cbranch_execnz .LBB18_21
.LBB18_17:                              ;   in Loop: Header=BB18_9 Depth=1
	s_or_b64 exec, exec, s[8:9]
	s_and_saveexec_b64 s[8:9], s[2:3]
	s_cbranch_execnz .LBB18_22
.LBB18_18:                              ;   in Loop: Header=BB18_9 Depth=1
	s_or_b64 exec, exec, s[8:9]
	s_and_saveexec_b64 s[2:3], s[4:5]
	s_cbranch_execnz .LBB18_23
.LBB18_19:                              ;   in Loop: Header=BB18_9 Depth=1
	s_or_b64 exec, exec, s[2:3]
	s_and_saveexec_b64 s[2:3], s[6:7]
	s_cbranch_execz .LBB18_8
	s_branch .LBB18_24
.LBB18_20:                              ;   in Loop: Header=BB18_9 Depth=1
	v_mov_b32_e32 v5, s13
	v_add_co_u32_e64 v41, s[8:9], s12, v25
	v_addc_co_u32_e64 v42, s[8:9], v26, v5, s[8:9]
	v_add_co_u32_e64 v43, s[8:9], s12, v23
	v_addc_co_u32_e64 v44, s[8:9], v24, v5, s[8:9]
	global_load_dwordx2 v[17:18], v[43:44], off
	global_load_dwordx2 v[5:6], v[41:42], off
	s_or_b64 exec, exec, s[20:21]
	s_and_saveexec_b64 s[8:9], vcc
	s_cbranch_execz .LBB18_17
.LBB18_21:                              ;   in Loop: Header=BB18_9 Depth=1
	s_waitcnt vmcnt(0)
	v_add_f64 v[41:42], v[7:8], -v[9:10]
	v_fma_f64 v[9:10], s[10:11], v[41:42], v[9:10]
	v_fma_f64 v[7:8], -v[1:2], v[41:42], v[7:8]
	v_mov_b32_e32 v41, s13
	v_cndmask_b32_e64 v7, v7, v9, s[0:1]
	v_add_co_u32_e32 v9, vcc, s12, v19
	v_cndmask_b32_e64 v8, v8, v10, s[0:1]
	v_addc_co_u32_e32 v10, vcc, v20, v41, vcc
	global_store_dwordx2 v[9:10], v[7:8], off
	s_or_b64 exec, exec, s[8:9]
	s_and_saveexec_b64 s[8:9], s[2:3]
	s_cbranch_execz .LBB18_18
.LBB18_22:                              ;   in Loop: Header=BB18_9 Depth=1
	s_waitcnt vmcnt(0)
	v_add_f64 v[7:8], v[3:4], -v[11:12]
	v_fma_f64 v[9:10], s[10:11], v[7:8], v[11:12]
	v_fma_f64 v[3:4], -v[1:2], v[7:8], v[3:4]
	v_mov_b32_e32 v8, s13
	v_add_co_u32_e32 v7, vcc, s12, v33
	v_addc_co_u32_e32 v8, vcc, v34, v8, vcc
	v_cndmask_b32_e64 v4, v4, v10, s[0:1]
	v_cndmask_b32_e64 v3, v3, v9, s[0:1]
	global_store_dwordx2 v[7:8], v[3:4], off
	s_or_b64 exec, exec, s[8:9]
	s_and_saveexec_b64 s[2:3], s[4:5]
	s_cbranch_execz .LBB18_19
.LBB18_23:                              ;   in Loop: Header=BB18_9 Depth=1
	s_waitcnt vmcnt(0)
	v_add_f64 v[3:4], v[13:14], -v[15:16]
	v_mov_b32_e32 v9, s13
	v_fma_f64 v[7:8], s[10:11], v[3:4], v[15:16]
	v_fma_f64 v[3:4], -v[1:2], v[3:4], v[13:14]
	v_cndmask_b32_e64 v3, v3, v7, s[0:1]
	v_add_co_u32_e32 v7, vcc, s12, v27
	v_cndmask_b32_e64 v4, v4, v8, s[0:1]
	v_addc_co_u32_e32 v8, vcc, v28, v9, vcc
	global_store_dwordx2 v[7:8], v[3:4], off
	s_or_b64 exec, exec, s[2:3]
	s_and_saveexec_b64 s[2:3], s[6:7]
	s_cbranch_execz .LBB18_8
.LBB18_24:                              ;   in Loop: Header=BB18_9 Depth=1
	s_waitcnt vmcnt(0)
	v_add_f64 v[3:4], v[5:6], -v[17:18]
	v_fma_f64 v[7:8], s[10:11], v[3:4], v[17:18]
	v_fma_f64 v[3:4], -v[1:2], v[3:4], v[5:6]
	v_mov_b32_e32 v6, s13
	v_add_co_u32_e32 v5, vcc, s12, v23
	v_addc_co_u32_e32 v6, vcc, v24, v6, vcc
	v_cndmask_b32_e64 v4, v4, v8, s[0:1]
	v_cndmask_b32_e64 v3, v3, v7, s[0:1]
	global_store_dwordx2 v[5:6], v[3:4], off
	s_branch .LBB18_8
.LBB18_25:
	s_endpgm
	.section	.rodata,"a",@progbits
	.p2align	6, 0x0
	.amdhsa_kernel _ZN2at6native12_GLOBAL__N_125multi_tensor_apply_kernelINS1_18TensorListMetadataILi2EEENS1_22TernaryOpScalarFunctorIdLi2ELi2ELi0EEEJNS0_11LerpFunctorIdEEdEEEvT_T0_DpT1_
		.amdhsa_group_segment_fixed_size 0
		.amdhsa_private_segment_fixed_size 0
		.amdhsa_kernarg_size 3416
		.amdhsa_user_sgpr_count 6
		.amdhsa_user_sgpr_private_segment_buffer 1
		.amdhsa_user_sgpr_dispatch_ptr 0
		.amdhsa_user_sgpr_queue_ptr 0
		.amdhsa_user_sgpr_kernarg_segment_ptr 1
		.amdhsa_user_sgpr_dispatch_id 0
		.amdhsa_user_sgpr_flat_scratch_init 0
		.amdhsa_user_sgpr_private_segment_size 0
		.amdhsa_uses_dynamic_stack 0
		.amdhsa_system_sgpr_private_segment_wavefront_offset 0
		.amdhsa_system_sgpr_workgroup_id_x 1
		.amdhsa_system_sgpr_workgroup_id_y 0
		.amdhsa_system_sgpr_workgroup_id_z 0
		.amdhsa_system_sgpr_workgroup_info 0
		.amdhsa_system_vgpr_workitem_id 0
		.amdhsa_next_free_vgpr 45
		.amdhsa_next_free_sgpr 24
		.amdhsa_reserve_vcc 1
		.amdhsa_reserve_flat_scratch 0
		.amdhsa_float_round_mode_32 0
		.amdhsa_float_round_mode_16_64 0
		.amdhsa_float_denorm_mode_32 3
		.amdhsa_float_denorm_mode_16_64 3
		.amdhsa_dx10_clamp 1
		.amdhsa_ieee_mode 1
		.amdhsa_fp16_overflow 0
		.amdhsa_exception_fp_ieee_invalid_op 0
		.amdhsa_exception_fp_denorm_src 0
		.amdhsa_exception_fp_ieee_div_zero 0
		.amdhsa_exception_fp_ieee_overflow 0
		.amdhsa_exception_fp_ieee_underflow 0
		.amdhsa_exception_fp_ieee_inexact 0
		.amdhsa_exception_int_div_zero 0
	.end_amdhsa_kernel
	.section	.text._ZN2at6native12_GLOBAL__N_125multi_tensor_apply_kernelINS1_18TensorListMetadataILi2EEENS1_22TernaryOpScalarFunctorIdLi2ELi2ELi0EEEJNS0_11LerpFunctorIdEEdEEEvT_T0_DpT1_,"axG",@progbits,_ZN2at6native12_GLOBAL__N_125multi_tensor_apply_kernelINS1_18TensorListMetadataILi2EEENS1_22TernaryOpScalarFunctorIdLi2ELi2ELi0EEEJNS0_11LerpFunctorIdEEdEEEvT_T0_DpT1_,comdat
.Lfunc_end18:
	.size	_ZN2at6native12_GLOBAL__N_125multi_tensor_apply_kernelINS1_18TensorListMetadataILi2EEENS1_22TernaryOpScalarFunctorIdLi2ELi2ELi0EEEJNS0_11LerpFunctorIdEEdEEEvT_T0_DpT1_, .Lfunc_end18-_ZN2at6native12_GLOBAL__N_125multi_tensor_apply_kernelINS1_18TensorListMetadataILi2EEENS1_22TernaryOpScalarFunctorIdLi2ELi2ELi0EEEJNS0_11LerpFunctorIdEEdEEEvT_T0_DpT1_
                                        ; -- End function
	.set _ZN2at6native12_GLOBAL__N_125multi_tensor_apply_kernelINS1_18TensorListMetadataILi2EEENS1_22TernaryOpScalarFunctorIdLi2ELi2ELi0EEEJNS0_11LerpFunctorIdEEdEEEvT_T0_DpT1_.num_vgpr, 45
	.set _ZN2at6native12_GLOBAL__N_125multi_tensor_apply_kernelINS1_18TensorListMetadataILi2EEENS1_22TernaryOpScalarFunctorIdLi2ELi2ELi0EEEJNS0_11LerpFunctorIdEEdEEEvT_T0_DpT1_.num_agpr, 0
	.set _ZN2at6native12_GLOBAL__N_125multi_tensor_apply_kernelINS1_18TensorListMetadataILi2EEENS1_22TernaryOpScalarFunctorIdLi2ELi2ELi0EEEJNS0_11LerpFunctorIdEEdEEEvT_T0_DpT1_.numbered_sgpr, 24
	.set _ZN2at6native12_GLOBAL__N_125multi_tensor_apply_kernelINS1_18TensorListMetadataILi2EEENS1_22TernaryOpScalarFunctorIdLi2ELi2ELi0EEEJNS0_11LerpFunctorIdEEdEEEvT_T0_DpT1_.num_named_barrier, 0
	.set _ZN2at6native12_GLOBAL__N_125multi_tensor_apply_kernelINS1_18TensorListMetadataILi2EEENS1_22TernaryOpScalarFunctorIdLi2ELi2ELi0EEEJNS0_11LerpFunctorIdEEdEEEvT_T0_DpT1_.private_seg_size, 0
	.set _ZN2at6native12_GLOBAL__N_125multi_tensor_apply_kernelINS1_18TensorListMetadataILi2EEENS1_22TernaryOpScalarFunctorIdLi2ELi2ELi0EEEJNS0_11LerpFunctorIdEEdEEEvT_T0_DpT1_.uses_vcc, 1
	.set _ZN2at6native12_GLOBAL__N_125multi_tensor_apply_kernelINS1_18TensorListMetadataILi2EEENS1_22TernaryOpScalarFunctorIdLi2ELi2ELi0EEEJNS0_11LerpFunctorIdEEdEEEvT_T0_DpT1_.uses_flat_scratch, 0
	.set _ZN2at6native12_GLOBAL__N_125multi_tensor_apply_kernelINS1_18TensorListMetadataILi2EEENS1_22TernaryOpScalarFunctorIdLi2ELi2ELi0EEEJNS0_11LerpFunctorIdEEdEEEvT_T0_DpT1_.has_dyn_sized_stack, 0
	.set _ZN2at6native12_GLOBAL__N_125multi_tensor_apply_kernelINS1_18TensorListMetadataILi2EEENS1_22TernaryOpScalarFunctorIdLi2ELi2ELi0EEEJNS0_11LerpFunctorIdEEdEEEvT_T0_DpT1_.has_recursion, 0
	.set _ZN2at6native12_GLOBAL__N_125multi_tensor_apply_kernelINS1_18TensorListMetadataILi2EEENS1_22TernaryOpScalarFunctorIdLi2ELi2ELi0EEEJNS0_11LerpFunctorIdEEdEEEvT_T0_DpT1_.has_indirect_call, 0
	.section	.AMDGPU.csdata,"",@progbits
; Kernel info:
; codeLenInByte = 1776
; TotalNumSgprs: 28
; NumVgprs: 45
; ScratchSize: 0
; MemoryBound: 0
; FloatMode: 240
; IeeeMode: 1
; LDSByteSize: 0 bytes/workgroup (compile time only)
; SGPRBlocks: 3
; VGPRBlocks: 11
; NumSGPRsForWavesPerEU: 28
; NumVGPRsForWavesPerEU: 45
; Occupancy: 5
; WaveLimiterHint : 0
; COMPUTE_PGM_RSRC2:SCRATCH_EN: 0
; COMPUTE_PGM_RSRC2:USER_SGPR: 6
; COMPUTE_PGM_RSRC2:TRAP_HANDLER: 0
; COMPUTE_PGM_RSRC2:TGID_X_EN: 1
; COMPUTE_PGM_RSRC2:TGID_Y_EN: 0
; COMPUTE_PGM_RSRC2:TGID_Z_EN: 0
; COMPUTE_PGM_RSRC2:TIDIG_COMP_CNT: 0
	.section	.text._ZN2at6native12_GLOBAL__N_125multi_tensor_apply_kernelINS1_18TensorListMetadataILi2EEENS1_22TernaryOpScalarFunctorIfLi2ELi2ELi0EEEJNS0_11LerpFunctorIfEEfEEEvT_T0_DpT1_,"axG",@progbits,_ZN2at6native12_GLOBAL__N_125multi_tensor_apply_kernelINS1_18TensorListMetadataILi2EEENS1_22TernaryOpScalarFunctorIfLi2ELi2ELi0EEEJNS0_11LerpFunctorIfEEfEEEvT_T0_DpT1_,comdat
	.globl	_ZN2at6native12_GLOBAL__N_125multi_tensor_apply_kernelINS1_18TensorListMetadataILi2EEENS1_22TernaryOpScalarFunctorIfLi2ELi2ELi0EEEJNS0_11LerpFunctorIfEEfEEEvT_T0_DpT1_ ; -- Begin function _ZN2at6native12_GLOBAL__N_125multi_tensor_apply_kernelINS1_18TensorListMetadataILi2EEENS1_22TernaryOpScalarFunctorIfLi2ELi2ELi0EEEJNS0_11LerpFunctorIfEEfEEEvT_T0_DpT1_
	.p2align	8
	.type	_ZN2at6native12_GLOBAL__N_125multi_tensor_apply_kernelINS1_18TensorListMetadataILi2EEENS1_22TernaryOpScalarFunctorIfLi2ELi2ELi0EEEJNS0_11LerpFunctorIfEEfEEEvT_T0_DpT1_,@function
_ZN2at6native12_GLOBAL__N_125multi_tensor_apply_kernelINS1_18TensorListMetadataILi2EEENS1_22TernaryOpScalarFunctorIfLi2ELi2ELi0EEEJNS0_11LerpFunctorIfEEfEEEvT_T0_DpT1_: ; @_ZN2at6native12_GLOBAL__N_125multi_tensor_apply_kernelINS1_18TensorListMetadataILi2EEENS1_22TernaryOpScalarFunctorIfLi2ELi2ELi0EEEJNS0_11LerpFunctorIfEEfEEEvT_T0_DpT1_
; %bb.0:
	v_mov_b32_e32 v1, s6
	global_load_ubyte v1, v1, s[4:5] offset:1536
	s_add_u32 s0, s4, s6
	s_mul_hi_u32 s3, s6, 3
	s_mul_i32 s6, s6, 3
	s_addc_u32 s7, s5, 0
	s_add_u32 s2, s0, s6
	s_addc_u32 s3, s7, s3
	s_load_dword s8, s[2:3], 0x740
	s_mov_b32 s1, 0
	s_mov_b32 s13, s1
	s_waitcnt lgkmcnt(0)
	s_ashr_i32 s9, s8, 31
	s_lshl_b64 s[10:11], s[8:9], 18
	s_lshl_b64 s[8:9], s[8:9], 16
	s_waitcnt vmcnt(0)
	v_readfirstlane_b32 s0, v1
	s_lshl_b32 s0, s0, 3
	s_load_dword s20, s[4:5], 0xc4c
	s_load_dwordx2 s[14:15], s[4:5], s0 offset:0x400
	s_load_dwordx2 s[6:7], s[4:5], s0 offset:0x0
	;; [unrolled: 1-line block ×3, first 2 shown]
	s_waitcnt lgkmcnt(0)
	s_add_u32 s0, s6, s10
	s_and_b32 s12, s2, 15
	s_and_b32 s0, s0, 15
	s_sub_u32 s8, s14, s8
	s_subb_u32 s9, s15, s9
	s_and_b32 s14, s14, 3
	s_mov_b32 s15, s1
	s_or_b64 s[12:13], s[12:13], s[14:15]
	s_or_b64 s[0:1], s[12:13], s[0:1]
	s_cmp_eq_u64 s[0:1], 0
	s_mov_b64 s[0:1], -1
	s_cbranch_scc0 .LBB19_5
; %bb.1:
	v_mov_b32_e32 v1, 0x10000
	v_mov_b32_e32 v2, 0
	v_cmp_lt_i64_e32 vcc, s[8:9], v[1:2]
	v_mov_b32_e32 v2, 0
	s_and_b64 s[0:1], vcc, exec
	s_cselect_b32 s13, s9, 0
	s_cselect_b32 s12, s8, 0x10000
	v_lshlrev_b32_e32 v1, 2, v0
	v_cmp_gt_i64_e32 vcc, s[12:13], v[1:2]
	s_and_saveexec_b64 s[14:15], vcc
	s_cbranch_execz .LBB19_4
; %bb.2:
	s_load_dword s0, s[4:5], 0xc5c
	v_mov_b32_e32 v1, v2
	v_lshlrev_b32_e32 v2, 4, v0
	v_mov_b32_e32 v5, s11
	v_cmp_lt_f32_e64 vcc, |s20|, 0.5
	s_waitcnt lgkmcnt(0)
	s_and_b32 s18, s0, 0xffff
	v_add_co_u32_e64 v4, s[0:1], s10, v2
	v_mov_b32_e32 v2, v1
	v_sub_f32_e64 v3, 1.0, s20
	v_addc_co_u32_e64 v5, s[0:1], 0, v5, s[0:1]
	s_lshl_b32 s19, s18, 4
	s_mov_b64 s[16:17], 0
	v_mov_b32_e32 v6, s7
	v_mov_b32_e32 v7, s3
	;; [unrolled: 1-line block ×3, first 2 shown]
.LBB19_3:                               ; =>This Inner Loop Header: Depth=1
	v_add_co_u32_e64 v16, s[0:1], s6, v4
	v_addc_co_u32_e64 v17, s[0:1], v6, v5, s[0:1]
	v_add_co_u32_e64 v18, s[0:1], s2, v4
	v_addc_co_u32_e64 v19, s[0:1], v7, v5, s[0:1]
	global_load_dwordx4 v[8:11], v[16:17], off
	global_load_dwordx4 v[12:15], v[18:19], off
	v_add_co_u32_e64 v1, s[0:1], s18, v1
	v_addc_co_u32_e64 v2, s[0:1], 0, v2, s[0:1]
	v_add_co_u32_e64 v4, s[0:1], s19, v4
	v_lshlrev_b64 v[18:19], 2, v[1:2]
	v_addc_co_u32_e64 v5, s[0:1], 0, v5, s[0:1]
	v_cmp_le_i64_e64 s[0:1], s[12:13], v[18:19]
	s_or_b64 s[16:17], s[0:1], s[16:17]
	s_waitcnt vmcnt(0)
	v_sub_f32_e32 v18, v12, v8
	v_sub_f32_e32 v19, v13, v9
	v_sub_f32_e32 v20, v14, v10
	v_sub_f32_e32 v21, v15, v11
	v_fma_f32 v12, -v3, v18, v12
	v_fma_f32 v13, -v3, v19, v13
	;; [unrolled: 1-line block ×4, first 2 shown]
	v_fma_f32 v8, s20, v18, v8
	v_fma_f32 v9, s20, v19, v9
	v_fmac_f32_e32 v11, s20, v21
	v_fma_f32 v10, s20, v20, v10
	v_cndmask_b32_e32 v8, v12, v8, vcc
	v_cndmask_b32_e32 v9, v13, v9, vcc
	;; [unrolled: 1-line block ×4, first 2 shown]
	global_store_dwordx4 v[16:17], v[8:11], off
	s_andn2_b64 exec, exec, s[16:17]
	s_cbranch_execnz .LBB19_3
.LBB19_4:
	s_or_b64 exec, exec, s[14:15]
	s_mov_b64 s[0:1], 0
.LBB19_5:
	s_andn2_b64 vcc, exec, s[0:1]
	s_cbranch_vccnz .LBB19_25
; %bb.6:
	v_cmp_lt_i64_e64 s[0:1], s[8:9], 1
	s_and_b64 vcc, exec, s[0:1]
	s_cbranch_vccnz .LBB19_25
; %bb.7:
	v_mov_b32_e32 v1, 0x10000
	s_load_dword s4, s[4:5], 0xc5c
	v_mov_b32_e32 v2, 0
	v_cmp_lt_i64_e32 vcc, s[8:9], v[1:2]
	v_mov_b32_e32 v10, 0
	s_and_b64 s[0:1], vcc, exec
	v_cmp_lt_u64_e32 vcc, s[8:9], v[1:2]
	s_cselect_b32 s13, s9, 0
	s_cselect_b32 s12, s8, 0x10000
	s_waitcnt lgkmcnt(0)
	s_and_b32 s16, s4, 0xffff
	v_lshlrev_b32_e32 v9, 2, v0
	s_and_b64 s[0:1], vcc, exec
	v_mov_b32_e32 v2, s7
	v_add_co_u32_e32 v1, vcc, s6, v9
	v_mad_u64_u32 v[7:8], s[4:5], s16, 12, v[9:10]
	v_addc_co_u32_e32 v2, vcc, 0, v2, vcc
	v_mov_b32_e32 v4, s3
	v_add_co_u32_e32 v3, vcc, s2, v9
	v_addc_co_u32_e32 v4, vcc, 0, v4, vcc
	v_mov_b32_e32 v6, s7
	v_add_co_u32_e32 v5, vcc, s6, v7
	;; [unrolled: 3-line block ×3, first 2 shown]
	s_cselect_b32 s15, s9, 0
	s_cselect_b32 s14, s8, 0x10000
	v_addc_co_u32_e32 v8, vcc, v10, v8, vcc
	s_lshl_b32 s4, s16, 3
	v_add_co_u32_e32 v11, vcc, s4, v9
	v_addc_co_u32_e64 v12, s[4:5], 0, 0, vcc
	v_mov_b32_e32 v10, s7
	v_add_co_u32_e32 v9, vcc, s6, v11
	v_addc_co_u32_e32 v10, vcc, v10, v12, vcc
	v_mov_b32_e32 v13, s3
	v_add_co_u32_e32 v11, vcc, s2, v11
	v_addc_co_u32_e32 v12, vcc, v13, v12, vcc
	v_add_co_u32_e32 v13, vcc, s16, v0
	v_lshlrev_b32_e32 v17, 2, v13
	v_addc_co_u32_e64 v14, s[4:5], 0, 0, vcc
	v_mov_b32_e32 v16, s7
	v_add_co_u32_e32 v15, vcc, s6, v17
	v_addc_co_u32_e32 v16, vcc, 0, v16, vcc
	v_mov_b32_e32 v18, s3
	v_add_co_u32_e32 v17, vcc, s2, v17
	s_mul_i32 s9, s16, 3
	v_addc_co_u32_e32 v18, vcc, 0, v18, vcc
	s_lshl_b32 s8, s16, 1
	v_add_co_u32_e32 v20, vcc, s9, v0
	v_addc_co_u32_e64 v21, s[2:3], 0, 0, vcc
	v_add_co_u32_e32 v22, vcc, s8, v0
	v_cmp_lt_f32_e64 s[0:1], |s20|, 0.5
	s_lshl_b32 s21, s16, 2
	s_lshl_b32 s22, s16, 4
	s_mov_b64 s[16:17], 0
	v_sub_f32_e64 v19, 1.0, s20
	v_addc_co_u32_e64 v23, s[2:3], 0, 0, vcc
	s_branch .LBB19_9
.LBB19_8:                               ;   in Loop: Header=BB19_9 Depth=1
	s_or_b64 exec, exec, s[2:3]
	v_add_co_u32_e32 v1, vcc, s22, v1
	v_addc_co_u32_e32 v2, vcc, 0, v2, vcc
	v_add_co_u32_e32 v3, vcc, s22, v3
	v_addc_co_u32_e32 v4, vcc, 0, v4, vcc
	;; [unrolled: 2-line block ×6, first 2 shown]
	s_add_u32 s16, s16, s21
	v_add_co_u32_e32 v15, vcc, s22, v15
	s_waitcnt vmcnt(0)
	v_mov_b32_e32 v25, s13
	s_addc_u32 s17, s17, 0
	v_addc_co_u32_e32 v16, vcc, 0, v16, vcc
	v_mov_b32_e32 v24, s12
	v_cmp_ge_i64_e32 vcc, s[16:17], v[24:25]
	v_add_co_u32_e64 v17, s[2:3], s22, v17
	v_addc_co_u32_e64 v18, s[2:3], 0, v18, s[2:3]
	s_cbranch_vccnz .LBB19_25
.LBB19_9:                               ; =>This Inner Loop Header: Depth=1
	v_mov_b32_e32 v25, s17
	v_add_co_u32_e32 v24, vcc, s16, v0
	v_addc_co_u32_e32 v25, vcc, 0, v25, vcc
	v_cmp_gt_u64_e32 vcc, s[14:15], v[24:25]
	v_mov_b32_e32 v25, 0
	v_mov_b32_e32 v24, 0
	s_and_saveexec_b64 s[4:5], vcc
	s_cbranch_execz .LBB19_11
; %bb.10:                               ;   in Loop: Header=BB19_9 Depth=1
	v_mov_b32_e32 v24, s11
	v_add_co_u32_e64 v26, s[2:3], s10, v3
	v_addc_co_u32_e64 v27, s[2:3], v4, v24, s[2:3]
	v_add_co_u32_e64 v28, s[2:3], s10, v1
	v_addc_co_u32_e64 v29, s[2:3], v2, v24, s[2:3]
	global_load_dword v24, v[28:29], off
	global_load_dword v25, v[26:27], off
.LBB19_11:                              ;   in Loop: Header=BB19_9 Depth=1
	s_or_b64 exec, exec, s[4:5]
	v_mov_b32_e32 v27, s17
	v_add_co_u32_e64 v26, s[2:3], s16, v13
	v_addc_co_u32_e64 v27, s[2:3], v14, v27, s[2:3]
	v_cmp_gt_u64_e64 s[2:3], s[14:15], v[26:27]
	v_mov_b32_e32 v26, 0
	v_mov_b32_e32 v28, 0
	;; [unrolled: 1-line block ×3, first 2 shown]
	s_and_saveexec_b64 s[6:7], s[2:3]
	s_cbranch_execz .LBB19_13
; %bb.12:                               ;   in Loop: Header=BB19_9 Depth=1
	v_mov_b32_e32 v27, s11
	v_add_co_u32_e64 v29, s[4:5], s10, v17
	v_addc_co_u32_e64 v30, s[4:5], v18, v27, s[4:5]
	v_add_co_u32_e64 v31, s[4:5], s10, v15
	v_addc_co_u32_e64 v32, s[4:5], v16, v27, s[4:5]
	global_load_dword v27, v[31:32], off
	global_load_dword v28, v[29:30], off
.LBB19_13:                              ;   in Loop: Header=BB19_9 Depth=1
	s_or_b64 exec, exec, s[6:7]
	v_mov_b32_e32 v30, s17
	v_add_co_u32_e64 v29, s[4:5], s16, v22
	v_addc_co_u32_e64 v30, s[4:5], v23, v30, s[4:5]
	v_cmp_gt_u64_e64 s[4:5], s[14:15], v[29:30]
	v_mov_b32_e32 v29, 0
	s_and_saveexec_b64 s[8:9], s[4:5]
	s_cbranch_execz .LBB19_15
; %bb.14:                               ;   in Loop: Header=BB19_9 Depth=1
	v_mov_b32_e32 v26, s11
	v_add_co_u32_e64 v30, s[6:7], s10, v11
	v_addc_co_u32_e64 v31, s[6:7], v12, v26, s[6:7]
	v_add_co_u32_e64 v32, s[6:7], s10, v9
	v_addc_co_u32_e64 v33, s[6:7], v10, v26, s[6:7]
	global_load_dword v29, v[32:33], off
	global_load_dword v26, v[30:31], off
.LBB19_15:                              ;   in Loop: Header=BB19_9 Depth=1
	s_or_b64 exec, exec, s[8:9]
	v_mov_b32_e32 v31, s17
	v_add_co_u32_e64 v30, s[6:7], s16, v20
	v_addc_co_u32_e64 v31, s[6:7], v21, v31, s[6:7]
	v_cmp_gt_u64_e64 s[6:7], s[14:15], v[30:31]
	v_mov_b32_e32 v30, 0
	v_mov_b32_e32 v31, 0
	s_and_saveexec_b64 s[18:19], s[6:7]
	s_cbranch_execnz .LBB19_20
; %bb.16:                               ;   in Loop: Header=BB19_9 Depth=1
	s_or_b64 exec, exec, s[18:19]
	s_and_saveexec_b64 s[8:9], vcc
	s_cbranch_execnz .LBB19_21
.LBB19_17:                              ;   in Loop: Header=BB19_9 Depth=1
	s_or_b64 exec, exec, s[8:9]
	s_and_saveexec_b64 s[8:9], s[2:3]
	s_cbranch_execnz .LBB19_22
.LBB19_18:                              ;   in Loop: Header=BB19_9 Depth=1
	s_or_b64 exec, exec, s[8:9]
	s_and_saveexec_b64 s[2:3], s[4:5]
	s_cbranch_execnz .LBB19_23
.LBB19_19:                              ;   in Loop: Header=BB19_9 Depth=1
	s_or_b64 exec, exec, s[2:3]
	s_and_saveexec_b64 s[2:3], s[6:7]
	s_cbranch_execz .LBB19_8
	s_branch .LBB19_24
.LBB19_20:                              ;   in Loop: Header=BB19_9 Depth=1
	v_mov_b32_e32 v30, s11
	v_add_co_u32_e64 v32, s[8:9], s10, v7
	v_addc_co_u32_e64 v33, s[8:9], v8, v30, s[8:9]
	v_add_co_u32_e64 v34, s[8:9], s10, v5
	v_addc_co_u32_e64 v35, s[8:9], v6, v30, s[8:9]
	global_load_dword v31, v[34:35], off
	global_load_dword v30, v[32:33], off
	s_or_b64 exec, exec, s[18:19]
	s_and_saveexec_b64 s[8:9], vcc
	s_cbranch_execz .LBB19_17
.LBB19_21:                              ;   in Loop: Header=BB19_9 Depth=1
	s_waitcnt vmcnt(0)
	v_sub_f32_e32 v34, v25, v24
	v_mov_b32_e32 v33, s11
	v_add_co_u32_e32 v32, vcc, s10, v1
	v_fmac_f32_e32 v24, s20, v34
	v_fma_f32 v25, -v19, v34, v25
	v_addc_co_u32_e32 v33, vcc, v2, v33, vcc
	v_cndmask_b32_e64 v24, v25, v24, s[0:1]
	global_store_dword v[32:33], v24, off
	s_or_b64 exec, exec, s[8:9]
	s_and_saveexec_b64 s[8:9], s[2:3]
	s_cbranch_execz .LBB19_18
.LBB19_22:                              ;   in Loop: Header=BB19_9 Depth=1
	s_waitcnt vmcnt(0)
	v_sub_f32_e32 v24, v28, v27
	v_fmac_f32_e32 v27, s20, v24
	v_fma_f32 v24, -v19, v24, v28
	v_cndmask_b32_e64 v27, v24, v27, s[0:1]
	v_mov_b32_e32 v25, s11
	v_add_co_u32_e32 v24, vcc, s10, v15
	v_addc_co_u32_e32 v25, vcc, v16, v25, vcc
	global_store_dword v[24:25], v27, off
	s_or_b64 exec, exec, s[8:9]
	s_and_saveexec_b64 s[2:3], s[4:5]
	s_cbranch_execz .LBB19_19
.LBB19_23:                              ;   in Loop: Header=BB19_9 Depth=1
	s_waitcnt vmcnt(0)
	v_sub_f32_e32 v24, v26, v29
	v_fmac_f32_e32 v29, s20, v24
	v_fma_f32 v24, -v19, v24, v26
	v_cndmask_b32_e64 v26, v24, v29, s[0:1]
	v_mov_b32_e32 v25, s11
	v_add_co_u32_e32 v24, vcc, s10, v9
	v_addc_co_u32_e32 v25, vcc, v10, v25, vcc
	global_store_dword v[24:25], v26, off
	s_or_b64 exec, exec, s[2:3]
	s_and_saveexec_b64 s[2:3], s[6:7]
	s_cbranch_execz .LBB19_8
.LBB19_24:                              ;   in Loop: Header=BB19_9 Depth=1
	s_waitcnt vmcnt(0)
	v_sub_f32_e32 v24, v30, v31
	v_fmac_f32_e32 v31, s20, v24
	v_fma_f32 v24, -v19, v24, v30
	v_cndmask_b32_e64 v26, v24, v31, s[0:1]
	v_mov_b32_e32 v25, s11
	v_add_co_u32_e32 v24, vcc, s10, v5
	v_addc_co_u32_e32 v25, vcc, v6, v25, vcc
	global_store_dword v[24:25], v26, off
	s_branch .LBB19_8
.LBB19_25:
	s_endpgm
	.section	.rodata,"a",@progbits
	.p2align	6, 0x0
	.amdhsa_kernel _ZN2at6native12_GLOBAL__N_125multi_tensor_apply_kernelINS1_18TensorListMetadataILi2EEENS1_22TernaryOpScalarFunctorIfLi2ELi2ELi0EEEJNS0_11LerpFunctorIfEEfEEEvT_T0_DpT1_
		.amdhsa_group_segment_fixed_size 0
		.amdhsa_private_segment_fixed_size 0
		.amdhsa_kernarg_size 3408
		.amdhsa_user_sgpr_count 6
		.amdhsa_user_sgpr_private_segment_buffer 1
		.amdhsa_user_sgpr_dispatch_ptr 0
		.amdhsa_user_sgpr_queue_ptr 0
		.amdhsa_user_sgpr_kernarg_segment_ptr 1
		.amdhsa_user_sgpr_dispatch_id 0
		.amdhsa_user_sgpr_flat_scratch_init 0
		.amdhsa_user_sgpr_private_segment_size 0
		.amdhsa_uses_dynamic_stack 0
		.amdhsa_system_sgpr_private_segment_wavefront_offset 0
		.amdhsa_system_sgpr_workgroup_id_x 1
		.amdhsa_system_sgpr_workgroup_id_y 0
		.amdhsa_system_sgpr_workgroup_id_z 0
		.amdhsa_system_sgpr_workgroup_info 0
		.amdhsa_system_vgpr_workitem_id 0
		.amdhsa_next_free_vgpr 36
		.amdhsa_next_free_sgpr 23
		.amdhsa_reserve_vcc 1
		.amdhsa_reserve_flat_scratch 0
		.amdhsa_float_round_mode_32 0
		.amdhsa_float_round_mode_16_64 0
		.amdhsa_float_denorm_mode_32 3
		.amdhsa_float_denorm_mode_16_64 3
		.amdhsa_dx10_clamp 1
		.amdhsa_ieee_mode 1
		.amdhsa_fp16_overflow 0
		.amdhsa_exception_fp_ieee_invalid_op 0
		.amdhsa_exception_fp_denorm_src 0
		.amdhsa_exception_fp_ieee_div_zero 0
		.amdhsa_exception_fp_ieee_overflow 0
		.amdhsa_exception_fp_ieee_underflow 0
		.amdhsa_exception_fp_ieee_inexact 0
		.amdhsa_exception_int_div_zero 0
	.end_amdhsa_kernel
	.section	.text._ZN2at6native12_GLOBAL__N_125multi_tensor_apply_kernelINS1_18TensorListMetadataILi2EEENS1_22TernaryOpScalarFunctorIfLi2ELi2ELi0EEEJNS0_11LerpFunctorIfEEfEEEvT_T0_DpT1_,"axG",@progbits,_ZN2at6native12_GLOBAL__N_125multi_tensor_apply_kernelINS1_18TensorListMetadataILi2EEENS1_22TernaryOpScalarFunctorIfLi2ELi2ELi0EEEJNS0_11LerpFunctorIfEEfEEEvT_T0_DpT1_,comdat
.Lfunc_end19:
	.size	_ZN2at6native12_GLOBAL__N_125multi_tensor_apply_kernelINS1_18TensorListMetadataILi2EEENS1_22TernaryOpScalarFunctorIfLi2ELi2ELi0EEEJNS0_11LerpFunctorIfEEfEEEvT_T0_DpT1_, .Lfunc_end19-_ZN2at6native12_GLOBAL__N_125multi_tensor_apply_kernelINS1_18TensorListMetadataILi2EEENS1_22TernaryOpScalarFunctorIfLi2ELi2ELi0EEEJNS0_11LerpFunctorIfEEfEEEvT_T0_DpT1_
                                        ; -- End function
	.set _ZN2at6native12_GLOBAL__N_125multi_tensor_apply_kernelINS1_18TensorListMetadataILi2EEENS1_22TernaryOpScalarFunctorIfLi2ELi2ELi0EEEJNS0_11LerpFunctorIfEEfEEEvT_T0_DpT1_.num_vgpr, 36
	.set _ZN2at6native12_GLOBAL__N_125multi_tensor_apply_kernelINS1_18TensorListMetadataILi2EEENS1_22TernaryOpScalarFunctorIfLi2ELi2ELi0EEEJNS0_11LerpFunctorIfEEfEEEvT_T0_DpT1_.num_agpr, 0
	.set _ZN2at6native12_GLOBAL__N_125multi_tensor_apply_kernelINS1_18TensorListMetadataILi2EEENS1_22TernaryOpScalarFunctorIfLi2ELi2ELi0EEEJNS0_11LerpFunctorIfEEfEEEvT_T0_DpT1_.numbered_sgpr, 23
	.set _ZN2at6native12_GLOBAL__N_125multi_tensor_apply_kernelINS1_18TensorListMetadataILi2EEENS1_22TernaryOpScalarFunctorIfLi2ELi2ELi0EEEJNS0_11LerpFunctorIfEEfEEEvT_T0_DpT1_.num_named_barrier, 0
	.set _ZN2at6native12_GLOBAL__N_125multi_tensor_apply_kernelINS1_18TensorListMetadataILi2EEENS1_22TernaryOpScalarFunctorIfLi2ELi2ELi0EEEJNS0_11LerpFunctorIfEEfEEEvT_T0_DpT1_.private_seg_size, 0
	.set _ZN2at6native12_GLOBAL__N_125multi_tensor_apply_kernelINS1_18TensorListMetadataILi2EEENS1_22TernaryOpScalarFunctorIfLi2ELi2ELi0EEEJNS0_11LerpFunctorIfEEfEEEvT_T0_DpT1_.uses_vcc, 1
	.set _ZN2at6native12_GLOBAL__N_125multi_tensor_apply_kernelINS1_18TensorListMetadataILi2EEENS1_22TernaryOpScalarFunctorIfLi2ELi2ELi0EEEJNS0_11LerpFunctorIfEEfEEEvT_T0_DpT1_.uses_flat_scratch, 0
	.set _ZN2at6native12_GLOBAL__N_125multi_tensor_apply_kernelINS1_18TensorListMetadataILi2EEENS1_22TernaryOpScalarFunctorIfLi2ELi2ELi0EEEJNS0_11LerpFunctorIfEEfEEEvT_T0_DpT1_.has_dyn_sized_stack, 0
	.set _ZN2at6native12_GLOBAL__N_125multi_tensor_apply_kernelINS1_18TensorListMetadataILi2EEENS1_22TernaryOpScalarFunctorIfLi2ELi2ELi0EEEJNS0_11LerpFunctorIfEEfEEEvT_T0_DpT1_.has_recursion, 0
	.set _ZN2at6native12_GLOBAL__N_125multi_tensor_apply_kernelINS1_18TensorListMetadataILi2EEENS1_22TernaryOpScalarFunctorIfLi2ELi2ELi0EEEJNS0_11LerpFunctorIfEEfEEEvT_T0_DpT1_.has_indirect_call, 0
	.section	.AMDGPU.csdata,"",@progbits
; Kernel info:
; codeLenInByte = 1616
; TotalNumSgprs: 27
; NumVgprs: 36
; ScratchSize: 0
; MemoryBound: 0
; FloatMode: 240
; IeeeMode: 1
; LDSByteSize: 0 bytes/workgroup (compile time only)
; SGPRBlocks: 3
; VGPRBlocks: 8
; NumSGPRsForWavesPerEU: 27
; NumVGPRsForWavesPerEU: 36
; Occupancy: 7
; WaveLimiterHint : 0
; COMPUTE_PGM_RSRC2:SCRATCH_EN: 0
; COMPUTE_PGM_RSRC2:USER_SGPR: 6
; COMPUTE_PGM_RSRC2:TRAP_HANDLER: 0
; COMPUTE_PGM_RSRC2:TGID_X_EN: 1
; COMPUTE_PGM_RSRC2:TGID_Y_EN: 0
; COMPUTE_PGM_RSRC2:TGID_Z_EN: 0
; COMPUTE_PGM_RSRC2:TIDIG_COMP_CNT: 0
	.section	.text._ZN2at6native12_GLOBAL__N_125multi_tensor_apply_kernelINS1_18TensorListMetadataILi2EEENS1_22TernaryOpScalarFunctorIN3c107complexIdEELi2ELi2ELi0EEEJNS0_11LerpFunctorIS8_EES8_EEEvT_T0_DpT1_,"axG",@progbits,_ZN2at6native12_GLOBAL__N_125multi_tensor_apply_kernelINS1_18TensorListMetadataILi2EEENS1_22TernaryOpScalarFunctorIN3c107complexIdEELi2ELi2ELi0EEEJNS0_11LerpFunctorIS8_EES8_EEEvT_T0_DpT1_,comdat
	.globl	_ZN2at6native12_GLOBAL__N_125multi_tensor_apply_kernelINS1_18TensorListMetadataILi2EEENS1_22TernaryOpScalarFunctorIN3c107complexIdEELi2ELi2ELi0EEEJNS0_11LerpFunctorIS8_EES8_EEEvT_T0_DpT1_ ; -- Begin function _ZN2at6native12_GLOBAL__N_125multi_tensor_apply_kernelINS1_18TensorListMetadataILi2EEENS1_22TernaryOpScalarFunctorIN3c107complexIdEELi2ELi2ELi0EEEJNS0_11LerpFunctorIS8_EES8_EEEvT_T0_DpT1_
	.p2align	8
	.type	_ZN2at6native12_GLOBAL__N_125multi_tensor_apply_kernelINS1_18TensorListMetadataILi2EEENS1_22TernaryOpScalarFunctorIN3c107complexIdEELi2ELi2ELi0EEEJNS0_11LerpFunctorIS8_EES8_EEEvT_T0_DpT1_,@function
_ZN2at6native12_GLOBAL__N_125multi_tensor_apply_kernelINS1_18TensorListMetadataILi2EEENS1_22TernaryOpScalarFunctorIN3c107complexIdEELi2ELi2ELi0EEEJNS0_11LerpFunctorIS8_EES8_EEEvT_T0_DpT1_: ; @_ZN2at6native12_GLOBAL__N_125multi_tensor_apply_kernelINS1_18TensorListMetadataILi2EEENS1_22TernaryOpScalarFunctorIN3c107complexIdEELi2ELi2ELi0EEEJNS0_11LerpFunctorIS8_EES8_EEEvT_T0_DpT1_
; %bb.0:
	v_mov_b32_e32 v1, s6
	global_load_ubyte v1, v1, s[4:5] offset:1536
	s_add_u32 s0, s4, s6
	s_mul_hi_u32 s3, s6, 3
	s_mul_i32 s6, s6, 3
	s_addc_u32 s7, s5, 0
	s_add_u32 s2, s0, s6
	s_addc_u32 s3, s7, s3
	s_load_dwordx4 s[12:15], s[4:5], 0xc50
	s_load_dword s6, s[2:3], 0x740
	s_mov_b32 s1, 0
	s_mov_b32 s3, s1
	s_waitcnt lgkmcnt(0)
	s_ashr_i32 s7, s6, 31
	s_lshl_b64 s[20:21], s[6:7], 20
	s_waitcnt vmcnt(0)
	v_readfirstlane_b32 s0, v1
	s_lshl_b32 s0, s0, 3
	s_load_dwordx2 s[8:9], s[4:5], s0 offset:0x0
	s_load_dwordx2 s[10:11], s[4:5], s0 offset:0x400
	;; [unrolled: 1-line block ×3, first 2 shown]
	s_waitcnt lgkmcnt(0)
	s_add_u32 s16, s8, s20
	s_addc_u32 s17, s9, s21
	s_and_b32 s0, s16, 63
	s_add_u32 s18, s18, s20
	s_addc_u32 s19, s19, s21
	s_lshl_b64 s[6:7], s[6:7], 16
	s_and_b32 s2, s18, 63
	s_sub_u32 s6, s10, s6
	s_subb_u32 s7, s11, s7
	s_and_b32 s8, s10, 3
	s_mov_b32 s9, s1
	s_or_b64 s[2:3], s[2:3], s[8:9]
	s_or_b64 s[0:1], s[2:3], s[0:1]
	s_cmp_eq_u64 s[0:1], 0
	s_mov_b64 s[0:1], -1
	s_cbranch_scc0 .LBB20_21
; %bb.1:
	v_mov_b32_e32 v1, 0x10000
	v_mov_b32_e32 v2, 0
	v_cmp_lt_i64_e32 vcc, s[6:7], v[1:2]
	v_mov_b32_e32 v2, 0
	s_and_b64 s[0:1], vcc, exec
	s_cselect_b32 s9, s7, 0
	s_cselect_b32 s8, s6, 0x10000
	v_lshlrev_b32_e32 v1, 2, v0
	v_cmp_gt_i64_e32 vcc, s[8:9], v[1:2]
	s_and_saveexec_b64 s[10:11], vcc
	s_cbranch_execz .LBB20_20
; %bb.2:
	v_mul_f64 v[3:4], s[14:15], s[14:15]
	s_mov_b32 s0, 0
	s_mov_b32 s1, 0x3fd00000
	v_add_f64 v[37:38], -s[12:13], 1.0
	v_add_f64 v[39:40], -s[14:15], 0
	s_load_dword s2, s[4:5], 0xc6c
	v_mov_b32_e32 v1, v2
	v_mov_b32_e32 v42, v1
	v_fma_f64 v[3:4], s[12:13], s[12:13], v[3:4]
	s_mov_b64 s[20:21], 0
	s_waitcnt lgkmcnt(0)
	s_and_b32 s28, s2, 0xffff
	v_lshlrev_b32_e32 v49, 6, v0
	s_lshl_b32 s29, s28, 6
	s_mov_b64 s[22:23], s[16:17]
	s_mov_b64 s[24:25], s[18:19]
	v_mov_b32_e32 v41, v0
	v_cmp_ngt_f64_e64 s[0:1], s[0:1], v[3:4]
	s_branch .LBB20_4
.LBB20_3:                               ;   in Loop: Header=BB20_4 Depth=1
	v_add_co_u32_e32 v41, vcc, s28, v41
	v_addc_co_u32_e32 v42, vcc, 0, v42, vcc
	v_lshlrev_b64 v[1:2], 2, v[41:42]
	s_add_u32 s24, s24, s29
	s_addc_u32 s25, s25, 0
	s_add_u32 s22, s22, s29
	v_cmp_le_i64_e32 vcc, s[8:9], v[1:2]
	s_addc_u32 s23, s23, 0
	s_or_b64 s[20:21], vcc, s[20:21]
	global_store_dwordx4 v[43:44], v[5:8], off
	global_store_dwordx4 v[43:44], v[17:20], off offset:16
	global_store_dwordx4 v[43:44], v[25:28], off offset:32
	;; [unrolled: 1-line block ×3, first 2 shown]
	s_andn2_b64 exec, exec, s[20:21]
	s_cbranch_execz .LBB20_20
.LBB20_4:                               ; =>This Inner Loop Header: Depth=1
	v_mov_b32_e32 v1, s23
	v_add_co_u32_e32 v43, vcc, s22, v49
	v_addc_co_u32_e32 v44, vcc, 0, v1, vcc
	v_mov_b32_e32 v1, s25
	v_add_co_u32_e32 v5, vcc, s24, v49
	v_addc_co_u32_e32 v6, vcc, 0, v1, vcc
	global_load_dwordx4 v[17:20], v[43:44], off
	global_load_dwordx4 v[33:36], v[5:6], off
	global_load_dwordx4 v[29:32], v[5:6], off offset:16
	global_load_dwordx4 v[9:12], v[5:6], off offset:48
	;; [unrolled: 1-line block ×6, first 2 shown]
	s_mov_b64 s[2:3], -1
	s_and_b64 vcc, exec, s[0:1]
                                        ; implicit-def: $vgpr7_vgpr8
	s_waitcnt vmcnt(6)
	v_add_f64 v[45:46], v[33:34], -v[17:18]
	v_add_f64 v[47:48], v[35:36], -v[19:20]
	s_cbranch_vccz .LBB20_6
; %bb.5:                                ;   in Loop: Header=BB20_4 Depth=1
	v_mul_f64 v[5:6], v[39:40], v[47:48]
	v_mul_f64 v[7:8], v[37:38], v[47:48]
	s_mov_b64 s[2:3], 0
	v_fma_f64 v[5:6], v[37:38], v[45:46], -v[5:6]
	v_fma_f64 v[7:8], v[39:40], v[45:46], v[7:8]
	v_add_f64 v[5:6], v[33:34], -v[5:6]
	v_add_f64 v[7:8], v[35:36], -v[7:8]
.LBB20_6:                               ;   in Loop: Header=BB20_4 Depth=1
	s_andn2_b64 vcc, exec, s[2:3]
	s_cbranch_vccnz .LBB20_8
; %bb.7:                                ;   in Loop: Header=BB20_4 Depth=1
	v_mul_f64 v[5:6], s[14:15], v[47:48]
	v_mul_f64 v[7:8], s[12:13], v[47:48]
	v_fma_f64 v[5:6], s[12:13], v[45:46], -v[5:6]
	v_fma_f64 v[7:8], s[14:15], v[45:46], v[7:8]
	v_add_f64 v[5:6], v[17:18], v[5:6]
	v_add_f64 v[7:8], v[19:20], v[7:8]
.LBB20_8:                               ;   in Loop: Header=BB20_4 Depth=1
	s_waitcnt vmcnt(2)
	v_add_f64 v[33:34], v[29:30], -v[25:26]
	v_add_f64 v[35:36], v[31:32], -v[27:28]
	v_cndmask_b32_e64 v17, 0, 1, s[0:1]
	v_cmp_ne_u32_e64 s[2:3], 1, v17
	s_andn2_b64 vcc, exec, s[0:1]
	s_mov_b64 s[26:27], -1
                                        ; implicit-def: $vgpr19_vgpr20
	s_cbranch_vccnz .LBB20_10
; %bb.9:                                ;   in Loop: Header=BB20_4 Depth=1
	v_mul_f64 v[17:18], v[39:40], v[35:36]
	v_mul_f64 v[19:20], v[37:38], v[35:36]
	s_mov_b64 s[26:27], 0
	v_fma_f64 v[17:18], v[37:38], v[33:34], -v[17:18]
	v_fma_f64 v[19:20], v[39:40], v[33:34], v[19:20]
	v_add_f64 v[17:18], v[29:30], -v[17:18]
	v_add_f64 v[19:20], v[31:32], -v[19:20]
.LBB20_10:                              ;   in Loop: Header=BB20_4 Depth=1
	s_andn2_b64 vcc, exec, s[26:27]
	s_cbranch_vccnz .LBB20_12
; %bb.11:                               ;   in Loop: Header=BB20_4 Depth=1
	v_mul_f64 v[17:18], s[14:15], v[35:36]
	v_mul_f64 v[19:20], s[12:13], v[35:36]
	v_fma_f64 v[17:18], s[12:13], v[33:34], -v[17:18]
	v_fma_f64 v[19:20], s[14:15], v[33:34], v[19:20]
	v_add_f64 v[17:18], v[25:26], v[17:18]
	v_add_f64 v[19:20], v[27:28], v[19:20]
.LBB20_12:                              ;   in Loop: Header=BB20_4 Depth=1
	s_waitcnt vmcnt(0)
	v_add_f64 v[29:30], v[21:22], -v[13:14]
	v_add_f64 v[31:32], v[23:24], -v[15:16]
	s_and_b64 vcc, exec, s[2:3]
	s_mov_b64 s[26:27], -1
                                        ; implicit-def: $vgpr27_vgpr28
	s_cbranch_vccnz .LBB20_14
; %bb.13:                               ;   in Loop: Header=BB20_4 Depth=1
	v_mul_f64 v[25:26], v[39:40], v[31:32]
	v_mul_f64 v[27:28], v[37:38], v[31:32]
	s_mov_b64 s[26:27], 0
	v_fma_f64 v[25:26], v[37:38], v[29:30], -v[25:26]
	v_fma_f64 v[27:28], v[39:40], v[29:30], v[27:28]
	v_add_f64 v[25:26], v[21:22], -v[25:26]
	v_add_f64 v[27:28], v[23:24], -v[27:28]
.LBB20_14:                              ;   in Loop: Header=BB20_4 Depth=1
	s_andn2_b64 vcc, exec, s[26:27]
	s_cbranch_vccnz .LBB20_16
; %bb.15:                               ;   in Loop: Header=BB20_4 Depth=1
	v_mul_f64 v[21:22], s[14:15], v[31:32]
	v_mul_f64 v[23:24], s[12:13], v[31:32]
	v_fma_f64 v[21:22], s[12:13], v[29:30], -v[21:22]
	v_fma_f64 v[23:24], s[14:15], v[29:30], v[23:24]
	v_add_f64 v[25:26], v[13:14], v[21:22]
	v_add_f64 v[27:28], v[15:16], v[23:24]
.LBB20_16:                              ;   in Loop: Header=BB20_4 Depth=1
	v_add_f64 v[21:22], v[9:10], -v[1:2]
	v_add_f64 v[23:24], v[11:12], -v[3:4]
	s_and_b64 vcc, exec, s[2:3]
	s_mov_b64 s[2:3], -1
                                        ; implicit-def: $vgpr15_vgpr16
	s_cbranch_vccnz .LBB20_18
; %bb.17:                               ;   in Loop: Header=BB20_4 Depth=1
	v_mul_f64 v[13:14], v[39:40], v[23:24]
	v_mul_f64 v[15:16], v[37:38], v[23:24]
	s_mov_b64 s[2:3], 0
	v_fma_f64 v[13:14], v[37:38], v[21:22], -v[13:14]
	v_fma_f64 v[15:16], v[39:40], v[21:22], v[15:16]
	v_add_f64 v[13:14], v[9:10], -v[13:14]
	v_add_f64 v[15:16], v[11:12], -v[15:16]
.LBB20_18:                              ;   in Loop: Header=BB20_4 Depth=1
	s_andn2_b64 vcc, exec, s[2:3]
	s_cbranch_vccnz .LBB20_3
; %bb.19:                               ;   in Loop: Header=BB20_4 Depth=1
	v_mul_f64 v[9:10], s[14:15], v[23:24]
	v_mul_f64 v[11:12], s[12:13], v[23:24]
	v_fma_f64 v[9:10], s[12:13], v[21:22], -v[9:10]
	v_fma_f64 v[11:12], s[14:15], v[21:22], v[11:12]
	v_add_f64 v[13:14], v[1:2], v[9:10]
	v_add_f64 v[15:16], v[3:4], v[11:12]
	s_branch .LBB20_3
.LBB20_20:
	s_or_b64 exec, exec, s[10:11]
	s_mov_b64 s[0:1], 0
.LBB20_21:
	s_andn2_b64 vcc, exec, s[0:1]
	s_cbranch_vccnz .LBB20_57
; %bb.22:
	v_cmp_lt_i64_e64 s[0:1], s[6:7], 1
	s_and_b64 vcc, exec, s[0:1]
	s_cbranch_vccnz .LBB20_57
; %bb.23:
	v_mul_f64 v[1:2], s[14:15], s[14:15]
	s_mov_b32 s0, 0
	s_mov_b32 s1, 0x3fd00000
	v_mov_b32_e32 v3, 0x10000
	s_load_dword s8, s[4:5], 0xc6c
	v_add_f64 v[37:38], -s[12:13], 1.0
	v_add_f64 v[39:40], -s[14:15], 0
	v_mov_b32_e32 v4, 0
	v_fma_f64 v[1:2], s[12:13], s[12:13], v[1:2]
	v_cmp_lt_i64_e32 vcc, s[6:7], v[3:4]
	v_cmp_lt_u64_e64 s[2:3], s[6:7], v[3:4]
	s_and_b64 s[4:5], vcc, exec
	s_cselect_b32 s21, s7, 0
	s_cselect_b32 s20, s6, 0x10000
	s_waitcnt lgkmcnt(0)
	s_and_b32 s28, s8, 0xffff
	s_and_b64 s[2:3], s[2:3], exec
	v_cmp_ngt_f64_e64 s[0:1], s[0:1], v[1:2]
	s_cselect_b32 s23, s7, 0
	s_cselect_b32 s22, s6, 0x10000
	s_lshl_b32 s29, s28, 1
	s_mul_i32 s30, s28, 3
	s_mov_b64 s[24:25], 0
	s_lshl_b32 s31, s28, 2
	s_branch .LBB20_25
.LBB20_24:                              ;   in Loop: Header=BB20_25 Depth=1
	s_or_b64 exec, exec, s[2:3]
	s_add_u32 s24, s24, s31
	v_mov_b32_e32 v1, s20
	s_addc_u32 s25, s25, 0
	v_mov_b32_e32 v2, s21
	v_cmp_ge_i64_e32 vcc, s[24:25], v[1:2]
	s_cbranch_vccnz .LBB20_57
.LBB20_25:                              ; =>This Inner Loop Header: Depth=1
	v_mov_b32_e32 v1, s25
	v_add_co_u32_e32 v41, vcc, s24, v0
	v_addc_co_u32_e32 v42, vcc, 0, v1, vcc
	v_cmp_gt_u64_e64 s[2:3], s[22:23], v[41:42]
	v_mov_b32_e32 v3, 0
	v_mov_b32_e32 v27, 0
	;; [unrolled: 1-line block ×10, first 2 shown]
	s_and_saveexec_b64 s[4:5], s[2:3]
	s_cbranch_execz .LBB20_27
; %bb.26:                               ;   in Loop: Header=BB20_25 Depth=1
	v_lshlrev_b64 v[1:2], 4, v[41:42]
	v_mov_b32_e32 v6, s19
	v_add_co_u32_e32 v5, vcc, s18, v1
	v_addc_co_u32_e32 v6, vcc, v6, v2, vcc
	v_mov_b32_e32 v7, s17
	v_add_co_u32_e32 v1, vcc, s16, v1
	v_addc_co_u32_e32 v2, vcc, v7, v2, vcc
	global_load_dwordx4 v[9:12], v[1:2], off
	global_load_dwordx4 v[25:28], v[5:6], off
.LBB20_27:                              ;   in Loop: Header=BB20_25 Depth=1
	s_or_b64 exec, exec, s[4:5]
	v_add_co_u32_e32 v43, vcc, s28, v41
	v_addc_co_u32_e32 v44, vcc, 0, v42, vcc
	v_cmp_gt_u64_e64 s[4:5], s[22:23], v[43:44]
	v_mov_b32_e32 v1, 0
	v_mov_b32_e32 v15, 0
	;; [unrolled: 1-line block ×6, first 2 shown]
	s_and_saveexec_b64 s[6:7], s[4:5]
	s_cbranch_execz .LBB20_29
; %bb.28:                               ;   in Loop: Header=BB20_25 Depth=1
	v_lshlrev_b64 v[1:2], 4, v[43:44]
	v_mov_b32_e32 v3, s19
	v_add_co_u32_e32 v5, vcc, s18, v1
	v_addc_co_u32_e32 v6, vcc, v3, v2, vcc
	v_mov_b32_e32 v3, s17
	v_add_co_u32_e32 v7, vcc, s16, v1
	v_addc_co_u32_e32 v8, vcc, v3, v2, vcc
	global_load_dwordx4 v[13:16], v[7:8], off
	global_load_dwordx4 v[1:4], v[5:6], off
.LBB20_29:                              ;   in Loop: Header=BB20_25 Depth=1
	s_or_b64 exec, exec, s[6:7]
	v_add_co_u32_e32 v45, vcc, s29, v41
	v_addc_co_u32_e32 v46, vcc, 0, v42, vcc
	v_cmp_gt_u64_e64 s[6:7], s[22:23], v[45:46]
	v_mov_b32_e32 v7, 0
	v_mov_b32_e32 v31, 0
	;; [unrolled: 1-line block ×10, first 2 shown]
	s_and_saveexec_b64 s[8:9], s[6:7]
	s_cbranch_execz .LBB20_31
; %bb.30:                               ;   in Loop: Header=BB20_25 Depth=1
	v_lshlrev_b64 v[5:6], 4, v[45:46]
	v_mov_b32_e32 v17, s19
	v_add_co_u32_e32 v21, vcc, s18, v5
	v_addc_co_u32_e32 v22, vcc, v17, v6, vcc
	v_mov_b32_e32 v17, s17
	v_add_co_u32_e32 v5, vcc, s16, v5
	v_addc_co_u32_e32 v6, vcc, v17, v6, vcc
	global_load_dwordx4 v[17:20], v[5:6], off
	global_load_dwordx4 v[29:32], v[21:22], off
.LBB20_31:                              ;   in Loop: Header=BB20_25 Depth=1
	s_or_b64 exec, exec, s[8:9]
	v_add_co_u32_e32 v47, vcc, s30, v41
	v_addc_co_u32_e32 v48, vcc, 0, v42, vcc
	v_cmp_gt_u64_e64 s[8:9], s[22:23], v[47:48]
	v_mov_b32_e32 v5, 0
	v_mov_b32_e32 v23, 0
	;; [unrolled: 1-line block ×6, first 2 shown]
	s_and_saveexec_b64 s[10:11], s[8:9]
	s_cbranch_execz .LBB20_33
; %bb.32:                               ;   in Loop: Header=BB20_25 Depth=1
	v_lshlrev_b64 v[5:6], 4, v[47:48]
	v_mov_b32_e32 v7, s19
	v_add_co_u32_e32 v33, vcc, s18, v5
	v_addc_co_u32_e32 v34, vcc, v7, v6, vcc
	v_mov_b32_e32 v7, s17
	v_add_co_u32_e32 v35, vcc, s16, v5
	v_addc_co_u32_e32 v36, vcc, v7, v6, vcc
	global_load_dwordx4 v[21:24], v[35:36], off
	global_load_dwordx4 v[5:8], v[33:34], off
.LBB20_33:                              ;   in Loop: Header=BB20_25 Depth=1
	s_or_b64 exec, exec, s[10:11]
	s_waitcnt vmcnt(0)
	v_add_f64 v[49:50], v[25:26], -v[9:10]
	v_add_f64 v[51:52], v[27:28], -v[11:12]
	s_mov_b64 s[10:11], -1
	s_and_b64 vcc, exec, s[0:1]
                                        ; implicit-def: $vgpr35_vgpr36
	s_cbranch_vccz .LBB20_35
; %bb.34:                               ;   in Loop: Header=BB20_25 Depth=1
	v_mul_f64 v[33:34], v[39:40], v[51:52]
	v_mul_f64 v[35:36], v[39:40], v[49:50]
	s_mov_b64 s[10:11], 0
	v_fma_f64 v[33:34], v[37:38], v[49:50], -v[33:34]
	v_fma_f64 v[35:36], v[37:38], v[51:52], v[35:36]
	v_add_f64 v[33:34], v[25:26], -v[33:34]
	v_add_f64 v[35:36], v[27:28], -v[35:36]
.LBB20_35:                              ;   in Loop: Header=BB20_25 Depth=1
	s_andn2_b64 vcc, exec, s[10:11]
	s_cbranch_vccnz .LBB20_37
; %bb.36:                               ;   in Loop: Header=BB20_25 Depth=1
	v_mul_f64 v[25:26], s[14:15], v[51:52]
	v_mul_f64 v[27:28], s[14:15], v[49:50]
	v_fma_f64 v[25:26], s[12:13], v[49:50], -v[25:26]
	v_fma_f64 v[27:28], s[12:13], v[51:52], v[27:28]
	v_add_f64 v[33:34], v[9:10], v[25:26]
	v_add_f64 v[35:36], v[11:12], v[27:28]
.LBB20_37:                              ;   in Loop: Header=BB20_25 Depth=1
	v_add_f64 v[25:26], v[1:2], -v[13:14]
	v_add_f64 v[27:28], v[3:4], -v[15:16]
	v_cndmask_b32_e64 v9, 0, 1, s[0:1]
	v_cmp_ne_u32_e64 s[10:11], 1, v9
	s_andn2_b64 vcc, exec, s[0:1]
	s_mov_b64 s[26:27], -1
                                        ; implicit-def: $vgpr11_vgpr12
	s_cbranch_vccnz .LBB20_39
; %bb.38:                               ;   in Loop: Header=BB20_25 Depth=1
	v_mul_f64 v[9:10], v[39:40], v[27:28]
	v_mul_f64 v[11:12], v[39:40], v[25:26]
	s_mov_b64 s[26:27], 0
	v_fma_f64 v[9:10], v[37:38], v[25:26], -v[9:10]
	v_fma_f64 v[11:12], v[37:38], v[27:28], v[11:12]
	v_add_f64 v[9:10], v[1:2], -v[9:10]
	v_add_f64 v[11:12], v[3:4], -v[11:12]
.LBB20_39:                              ;   in Loop: Header=BB20_25 Depth=1
	s_andn2_b64 vcc, exec, s[26:27]
	s_cbranch_vccnz .LBB20_41
; %bb.40:                               ;   in Loop: Header=BB20_25 Depth=1
	v_mul_f64 v[1:2], s[14:15], v[27:28]
	v_mul_f64 v[3:4], s[14:15], v[25:26]
	v_fma_f64 v[1:2], s[12:13], v[25:26], -v[1:2]
	v_fma_f64 v[3:4], s[12:13], v[27:28], v[3:4]
	v_add_f64 v[9:10], v[13:14], v[1:2]
	v_add_f64 v[11:12], v[15:16], v[3:4]
.LBB20_41:                              ;   in Loop: Header=BB20_25 Depth=1
	v_add_f64 v[13:14], v[29:30], -v[17:18]
	v_add_f64 v[15:16], v[31:32], -v[19:20]
	s_and_b64 vcc, exec, s[10:11]
	s_mov_b64 s[26:27], -1
                                        ; implicit-def: $vgpr3_vgpr4
	s_cbranch_vccnz .LBB20_43
; %bb.42:                               ;   in Loop: Header=BB20_25 Depth=1
	v_mul_f64 v[1:2], v[39:40], v[15:16]
	v_mul_f64 v[3:4], v[39:40], v[13:14]
	s_mov_b64 s[26:27], 0
	v_fma_f64 v[1:2], v[37:38], v[13:14], -v[1:2]
	v_fma_f64 v[3:4], v[37:38], v[15:16], v[3:4]
	v_add_f64 v[1:2], v[29:30], -v[1:2]
	v_add_f64 v[3:4], v[31:32], -v[3:4]
.LBB20_43:                              ;   in Loop: Header=BB20_25 Depth=1
	s_andn2_b64 vcc, exec, s[26:27]
	s_cbranch_vccnz .LBB20_45
; %bb.44:                               ;   in Loop: Header=BB20_25 Depth=1
	v_mul_f64 v[1:2], s[14:15], v[15:16]
	v_mul_f64 v[3:4], s[14:15], v[13:14]
	v_fma_f64 v[1:2], s[12:13], v[13:14], -v[1:2]
	v_fma_f64 v[3:4], s[12:13], v[15:16], v[3:4]
	v_add_f64 v[1:2], v[17:18], v[1:2]
	v_add_f64 v[3:4], v[19:20], v[3:4]
.LBB20_45:                              ;   in Loop: Header=BB20_25 Depth=1
	v_add_f64 v[17:18], v[5:6], -v[21:22]
	v_add_f64 v[19:20], v[7:8], -v[23:24]
	s_and_b64 vcc, exec, s[10:11]
	s_mov_b64 s[10:11], -1
                                        ; implicit-def: $vgpr15_vgpr16
	s_cbranch_vccz .LBB20_51
; %bb.46:                               ;   in Loop: Header=BB20_25 Depth=1
	s_andn2_b64 vcc, exec, s[10:11]
	s_cbranch_vccz .LBB20_52
.LBB20_47:                              ;   in Loop: Header=BB20_25 Depth=1
	s_and_saveexec_b64 s[10:11], s[2:3]
	s_xor_b64 s[2:3], exec, s[10:11]
	s_cbranch_execnz .LBB20_53
.LBB20_48:                              ;   in Loop: Header=BB20_25 Depth=1
	s_or_b64 exec, exec, s[2:3]
	s_and_saveexec_b64 s[2:3], s[4:5]
	s_cbranch_execnz .LBB20_54
.LBB20_49:                              ;   in Loop: Header=BB20_25 Depth=1
	s_or_b64 exec, exec, s[2:3]
	s_and_saveexec_b64 s[2:3], s[6:7]
	s_cbranch_execnz .LBB20_55
.LBB20_50:                              ;   in Loop: Header=BB20_25 Depth=1
	s_or_b64 exec, exec, s[2:3]
	s_and_saveexec_b64 s[2:3], s[8:9]
	s_cbranch_execz .LBB20_24
	s_branch .LBB20_56
.LBB20_51:                              ;   in Loop: Header=BB20_25 Depth=1
	v_mul_f64 v[13:14], v[39:40], v[19:20]
	v_mul_f64 v[15:16], v[39:40], v[17:18]
	v_fma_f64 v[13:14], v[37:38], v[17:18], -v[13:14]
	v_fma_f64 v[15:16], v[37:38], v[19:20], v[15:16]
	v_add_f64 v[13:14], v[5:6], -v[13:14]
	v_add_f64 v[15:16], v[7:8], -v[15:16]
	s_cbranch_execnz .LBB20_47
.LBB20_52:                              ;   in Loop: Header=BB20_25 Depth=1
	v_mul_f64 v[5:6], s[14:15], v[19:20]
	v_mul_f64 v[7:8], s[14:15], v[17:18]
	v_fma_f64 v[5:6], s[12:13], v[17:18], -v[5:6]
	v_fma_f64 v[7:8], s[12:13], v[19:20], v[7:8]
	v_add_f64 v[13:14], v[21:22], v[5:6]
	v_add_f64 v[15:16], v[23:24], v[7:8]
	s_and_saveexec_b64 s[10:11], s[2:3]
	s_xor_b64 s[2:3], exec, s[10:11]
	s_cbranch_execz .LBB20_48
.LBB20_53:                              ;   in Loop: Header=BB20_25 Depth=1
	v_lshlrev_b64 v[5:6], 4, v[41:42]
	v_mov_b32_e32 v7, s17
	v_add_co_u32_e32 v5, vcc, s16, v5
	v_addc_co_u32_e32 v6, vcc, v7, v6, vcc
	global_store_dwordx4 v[5:6], v[33:36], off
	s_or_b64 exec, exec, s[2:3]
	s_and_saveexec_b64 s[2:3], s[4:5]
	s_cbranch_execz .LBB20_49
.LBB20_54:                              ;   in Loop: Header=BB20_25 Depth=1
	v_lshlrev_b64 v[5:6], 4, v[43:44]
	v_mov_b32_e32 v7, s17
	v_add_co_u32_e32 v5, vcc, s16, v5
	v_addc_co_u32_e32 v6, vcc, v7, v6, vcc
	global_store_dwordx4 v[5:6], v[9:12], off
	s_or_b64 exec, exec, s[2:3]
	s_and_saveexec_b64 s[2:3], s[6:7]
	s_cbranch_execz .LBB20_50
.LBB20_55:                              ;   in Loop: Header=BB20_25 Depth=1
	v_lshlrev_b64 v[5:6], 4, v[45:46]
	v_mov_b32_e32 v7, s17
	v_add_co_u32_e32 v5, vcc, s16, v5
	v_addc_co_u32_e32 v6, vcc, v7, v6, vcc
	global_store_dwordx4 v[5:6], v[1:4], off
	s_or_b64 exec, exec, s[2:3]
	s_and_saveexec_b64 s[2:3], s[8:9]
	s_cbranch_execz .LBB20_24
.LBB20_56:                              ;   in Loop: Header=BB20_25 Depth=1
	v_lshlrev_b64 v[1:2], 4, v[47:48]
	v_mov_b32_e32 v3, s17
	v_add_co_u32_e32 v1, vcc, s16, v1
	v_addc_co_u32_e32 v2, vcc, v3, v2, vcc
	global_store_dwordx4 v[1:2], v[13:16], off
	s_branch .LBB20_24
.LBB20_57:
	s_endpgm
	.section	.rodata,"a",@progbits
	.p2align	6, 0x0
	.amdhsa_kernel _ZN2at6native12_GLOBAL__N_125multi_tensor_apply_kernelINS1_18TensorListMetadataILi2EEENS1_22TernaryOpScalarFunctorIN3c107complexIdEELi2ELi2ELi0EEEJNS0_11LerpFunctorIS8_EES8_EEEvT_T0_DpT1_
		.amdhsa_group_segment_fixed_size 0
		.amdhsa_private_segment_fixed_size 0
		.amdhsa_kernarg_size 3424
		.amdhsa_user_sgpr_count 6
		.amdhsa_user_sgpr_private_segment_buffer 1
		.amdhsa_user_sgpr_dispatch_ptr 0
		.amdhsa_user_sgpr_queue_ptr 0
		.amdhsa_user_sgpr_kernarg_segment_ptr 1
		.amdhsa_user_sgpr_dispatch_id 0
		.amdhsa_user_sgpr_flat_scratch_init 0
		.amdhsa_user_sgpr_private_segment_size 0
		.amdhsa_uses_dynamic_stack 0
		.amdhsa_system_sgpr_private_segment_wavefront_offset 0
		.amdhsa_system_sgpr_workgroup_id_x 1
		.amdhsa_system_sgpr_workgroup_id_y 0
		.amdhsa_system_sgpr_workgroup_id_z 0
		.amdhsa_system_sgpr_workgroup_info 0
		.amdhsa_system_vgpr_workitem_id 0
		.amdhsa_next_free_vgpr 53
		.amdhsa_next_free_sgpr 32
		.amdhsa_reserve_vcc 1
		.amdhsa_reserve_flat_scratch 0
		.amdhsa_float_round_mode_32 0
		.amdhsa_float_round_mode_16_64 0
		.amdhsa_float_denorm_mode_32 3
		.amdhsa_float_denorm_mode_16_64 3
		.amdhsa_dx10_clamp 1
		.amdhsa_ieee_mode 1
		.amdhsa_fp16_overflow 0
		.amdhsa_exception_fp_ieee_invalid_op 0
		.amdhsa_exception_fp_denorm_src 0
		.amdhsa_exception_fp_ieee_div_zero 0
		.amdhsa_exception_fp_ieee_overflow 0
		.amdhsa_exception_fp_ieee_underflow 0
		.amdhsa_exception_fp_ieee_inexact 0
		.amdhsa_exception_int_div_zero 0
	.end_amdhsa_kernel
	.section	.text._ZN2at6native12_GLOBAL__N_125multi_tensor_apply_kernelINS1_18TensorListMetadataILi2EEENS1_22TernaryOpScalarFunctorIN3c107complexIdEELi2ELi2ELi0EEEJNS0_11LerpFunctorIS8_EES8_EEEvT_T0_DpT1_,"axG",@progbits,_ZN2at6native12_GLOBAL__N_125multi_tensor_apply_kernelINS1_18TensorListMetadataILi2EEENS1_22TernaryOpScalarFunctorIN3c107complexIdEELi2ELi2ELi0EEEJNS0_11LerpFunctorIS8_EES8_EEEvT_T0_DpT1_,comdat
.Lfunc_end20:
	.size	_ZN2at6native12_GLOBAL__N_125multi_tensor_apply_kernelINS1_18TensorListMetadataILi2EEENS1_22TernaryOpScalarFunctorIN3c107complexIdEELi2ELi2ELi0EEEJNS0_11LerpFunctorIS8_EES8_EEEvT_T0_DpT1_, .Lfunc_end20-_ZN2at6native12_GLOBAL__N_125multi_tensor_apply_kernelINS1_18TensorListMetadataILi2EEENS1_22TernaryOpScalarFunctorIN3c107complexIdEELi2ELi2ELi0EEEJNS0_11LerpFunctorIS8_EES8_EEEvT_T0_DpT1_
                                        ; -- End function
	.set _ZN2at6native12_GLOBAL__N_125multi_tensor_apply_kernelINS1_18TensorListMetadataILi2EEENS1_22TernaryOpScalarFunctorIN3c107complexIdEELi2ELi2ELi0EEEJNS0_11LerpFunctorIS8_EES8_EEEvT_T0_DpT1_.num_vgpr, 53
	.set _ZN2at6native12_GLOBAL__N_125multi_tensor_apply_kernelINS1_18TensorListMetadataILi2EEENS1_22TernaryOpScalarFunctorIN3c107complexIdEELi2ELi2ELi0EEEJNS0_11LerpFunctorIS8_EES8_EEEvT_T0_DpT1_.num_agpr, 0
	.set _ZN2at6native12_GLOBAL__N_125multi_tensor_apply_kernelINS1_18TensorListMetadataILi2EEENS1_22TernaryOpScalarFunctorIN3c107complexIdEELi2ELi2ELi0EEEJNS0_11LerpFunctorIS8_EES8_EEEvT_T0_DpT1_.numbered_sgpr, 32
	.set _ZN2at6native12_GLOBAL__N_125multi_tensor_apply_kernelINS1_18TensorListMetadataILi2EEENS1_22TernaryOpScalarFunctorIN3c107complexIdEELi2ELi2ELi0EEEJNS0_11LerpFunctorIS8_EES8_EEEvT_T0_DpT1_.num_named_barrier, 0
	.set _ZN2at6native12_GLOBAL__N_125multi_tensor_apply_kernelINS1_18TensorListMetadataILi2EEENS1_22TernaryOpScalarFunctorIN3c107complexIdEELi2ELi2ELi0EEEJNS0_11LerpFunctorIS8_EES8_EEEvT_T0_DpT1_.private_seg_size, 0
	.set _ZN2at6native12_GLOBAL__N_125multi_tensor_apply_kernelINS1_18TensorListMetadataILi2EEENS1_22TernaryOpScalarFunctorIN3c107complexIdEELi2ELi2ELi0EEEJNS0_11LerpFunctorIS8_EES8_EEEvT_T0_DpT1_.uses_vcc, 1
	.set _ZN2at6native12_GLOBAL__N_125multi_tensor_apply_kernelINS1_18TensorListMetadataILi2EEENS1_22TernaryOpScalarFunctorIN3c107complexIdEELi2ELi2ELi0EEEJNS0_11LerpFunctorIS8_EES8_EEEvT_T0_DpT1_.uses_flat_scratch, 0
	.set _ZN2at6native12_GLOBAL__N_125multi_tensor_apply_kernelINS1_18TensorListMetadataILi2EEENS1_22TernaryOpScalarFunctorIN3c107complexIdEELi2ELi2ELi0EEEJNS0_11LerpFunctorIS8_EES8_EEEvT_T0_DpT1_.has_dyn_sized_stack, 0
	.set _ZN2at6native12_GLOBAL__N_125multi_tensor_apply_kernelINS1_18TensorListMetadataILi2EEENS1_22TernaryOpScalarFunctorIN3c107complexIdEELi2ELi2ELi0EEEJNS0_11LerpFunctorIS8_EES8_EEEvT_T0_DpT1_.has_recursion, 0
	.set _ZN2at6native12_GLOBAL__N_125multi_tensor_apply_kernelINS1_18TensorListMetadataILi2EEENS1_22TernaryOpScalarFunctorIN3c107complexIdEELi2ELi2ELi0EEEJNS0_11LerpFunctorIS8_EES8_EEEvT_T0_DpT1_.has_indirect_call, 0
	.section	.AMDGPU.csdata,"",@progbits
; Kernel info:
; codeLenInByte = 2508
; TotalNumSgprs: 36
; NumVgprs: 53
; ScratchSize: 0
; MemoryBound: 1
; FloatMode: 240
; IeeeMode: 1
; LDSByteSize: 0 bytes/workgroup (compile time only)
; SGPRBlocks: 4
; VGPRBlocks: 13
; NumSGPRsForWavesPerEU: 36
; NumVGPRsForWavesPerEU: 53
; Occupancy: 4
; WaveLimiterHint : 0
; COMPUTE_PGM_RSRC2:SCRATCH_EN: 0
; COMPUTE_PGM_RSRC2:USER_SGPR: 6
; COMPUTE_PGM_RSRC2:TRAP_HANDLER: 0
; COMPUTE_PGM_RSRC2:TGID_X_EN: 1
; COMPUTE_PGM_RSRC2:TGID_Y_EN: 0
; COMPUTE_PGM_RSRC2:TGID_Z_EN: 0
; COMPUTE_PGM_RSRC2:TIDIG_COMP_CNT: 0
	.section	.text._ZN2at6native12_GLOBAL__N_125multi_tensor_apply_kernelINS1_18TensorListMetadataILi2EEENS1_22TernaryOpScalarFunctorIN3c107complexIfEELi2ELi2ELi0EEEJNS0_11LerpFunctorIS8_EES8_EEEvT_T0_DpT1_,"axG",@progbits,_ZN2at6native12_GLOBAL__N_125multi_tensor_apply_kernelINS1_18TensorListMetadataILi2EEENS1_22TernaryOpScalarFunctorIN3c107complexIfEELi2ELi2ELi0EEEJNS0_11LerpFunctorIS8_EES8_EEEvT_T0_DpT1_,comdat
	.globl	_ZN2at6native12_GLOBAL__N_125multi_tensor_apply_kernelINS1_18TensorListMetadataILi2EEENS1_22TernaryOpScalarFunctorIN3c107complexIfEELi2ELi2ELi0EEEJNS0_11LerpFunctorIS8_EES8_EEEvT_T0_DpT1_ ; -- Begin function _ZN2at6native12_GLOBAL__N_125multi_tensor_apply_kernelINS1_18TensorListMetadataILi2EEENS1_22TernaryOpScalarFunctorIN3c107complexIfEELi2ELi2ELi0EEEJNS0_11LerpFunctorIS8_EES8_EEEvT_T0_DpT1_
	.p2align	8
	.type	_ZN2at6native12_GLOBAL__N_125multi_tensor_apply_kernelINS1_18TensorListMetadataILi2EEENS1_22TernaryOpScalarFunctorIN3c107complexIfEELi2ELi2ELi0EEEJNS0_11LerpFunctorIS8_EES8_EEEvT_T0_DpT1_,@function
_ZN2at6native12_GLOBAL__N_125multi_tensor_apply_kernelINS1_18TensorListMetadataILi2EEENS1_22TernaryOpScalarFunctorIN3c107complexIfEELi2ELi2ELi0EEEJNS0_11LerpFunctorIS8_EES8_EEEvT_T0_DpT1_: ; @_ZN2at6native12_GLOBAL__N_125multi_tensor_apply_kernelINS1_18TensorListMetadataILi2EEENS1_22TernaryOpScalarFunctorIN3c107complexIfEELi2ELi2ELi0EEEJNS0_11LerpFunctorIS8_EES8_EEEvT_T0_DpT1_
; %bb.0:
	v_mov_b32_e32 v1, s6
	global_load_ubyte v1, v1, s[4:5] offset:1536
	s_add_u32 s0, s4, s6
	s_mul_hi_u32 s1, s6, 3
	s_mul_i32 s6, s6, 3
	s_addc_u32 s2, s5, 0
	s_add_u32 s0, s0, s6
	s_addc_u32 s1, s2, s1
	s_load_dword s0, s[0:1], 0x740
	s_mov_b32 s3, 0
	s_mov_b32 s9, s3
	s_waitcnt lgkmcnt(0)
	s_ashr_i32 s1, s0, 31
	s_lshl_b64 s[18:19], s[0:1], 19
	s_waitcnt vmcnt(0)
	v_readfirstlane_b32 s2, v1
	s_lshl_b32 s2, s2, 3
	s_load_dwordx2 s[6:7], s[4:5], s2 offset:0x0
	s_load_dwordx2 s[12:13], s[4:5], 0xc50
	s_load_dwordx2 s[10:11], s[4:5], s2 offset:0x400
	s_load_dwordx2 s[16:17], s[4:5], s2 offset:0x200
	s_waitcnt lgkmcnt(0)
	s_add_u32 s14, s6, s18
	s_addc_u32 s15, s7, s19
	s_and_b32 s2, s14, 31
	s_add_u32 s16, s16, s18
	s_addc_u32 s17, s17, s19
	s_lshl_b64 s[0:1], s[0:1], 16
	s_and_b32 s8, s16, 31
	s_sub_u32 s6, s10, s0
	s_subb_u32 s7, s11, s1
	s_and_b32 s0, s10, 3
	s_mov_b32 s1, s3
	s_or_b64 s[0:1], s[8:9], s[0:1]
	s_or_b64 s[0:1], s[0:1], s[2:3]
	s_cmp_eq_u64 s[0:1], 0
	s_mov_b64 s[0:1], -1
	s_cbranch_scc0 .LBB21_21
; %bb.1:
	v_mov_b32_e32 v1, 0x10000
	v_mov_b32_e32 v2, 0
	v_cmp_lt_i64_e32 vcc, s[6:7], v[1:2]
	v_mov_b32_e32 v2, 0
	s_and_b64 s[0:1], vcc, exec
	s_cselect_b32 s9, s7, 0
	s_cselect_b32 s8, s6, 0x10000
	v_lshlrev_b32_e32 v1, 2, v0
	v_cmp_gt_i64_e32 vcc, s[8:9], v[1:2]
	s_and_saveexec_b64 s[10:11], vcc
	s_cbranch_execz .LBB21_20
; %bb.2:
	s_load_dword s2, s[4:5], 0xc64
	v_mov_b32_e32 v1, v2
	v_mul_f32_e64 v2, s13, s13
	v_fmac_f32_e64 v2, s12, s12
	s_mov_b32 s0, 0x3e800000
	s_waitcnt lgkmcnt(0)
	s_and_b32 s26, s2, 0xffff
	v_mov_b32_e32 v22, v1
	v_cmp_ngt_f32_e64 s[0:1], s0, v2
	v_sub_f32_e64 v25, 1.0, s12
	v_sub_f32_e64 v26, 0, s13
	v_lshlrev_b32_e32 v27, 5, v0
	s_lshl_b32 s27, s26, 5
	s_mov_b64 s[18:19], 0
	s_mov_b64 s[20:21], s[14:15]
	s_mov_b64 s[22:23], s[16:17]
	v_mov_b32_e32 v21, v0
	s_branch .LBB21_4
.LBB21_3:                               ;   in Loop: Header=BB21_4 Depth=1
	v_add_co_u32_e32 v21, vcc, s26, v21
	v_addc_co_u32_e32 v22, vcc, 0, v22, vcc
	v_lshlrev_b64 v[1:2], 2, v[21:22]
	s_add_u32 s22, s22, s27
	s_addc_u32 s23, s23, 0
	s_add_u32 s20, s20, s27
	v_cmp_le_i64_e32 vcc, s[8:9], v[1:2]
	s_addc_u32 s21, s21, 0
	s_or_b64 s[18:19], vcc, s[18:19]
	global_store_dwordx4 v[23:24], v[5:8], off
	global_store_dwordx4 v[23:24], v[13:16], off offset:16
	s_andn2_b64 exec, exec, s[18:19]
	s_cbranch_execz .LBB21_20
.LBB21_4:                               ; =>This Inner Loop Header: Depth=1
	v_mov_b32_e32 v1, s21
	v_add_co_u32_e32 v23, vcc, s20, v27
	v_addc_co_u32_e32 v24, vcc, 0, v1, vcc
	v_mov_b32_e32 v1, s23
	v_add_co_u32_e32 v5, vcc, s22, v27
	v_addc_co_u32_e32 v6, vcc, 0, v1, vcc
	global_load_dwordx4 v[17:20], v[5:6], off
	global_load_dwordx4 v[13:16], v[23:24], off
	global_load_dwordx4 v[1:4], v[23:24], off offset:16
	global_load_dwordx4 v[9:12], v[5:6], off offset:16
	s_mov_b64 s[2:3], -1
	s_and_b64 vcc, exec, s[0:1]
                                        ; implicit-def: $vgpr6
	s_waitcnt vmcnt(2)
	v_sub_f32_e32 v7, v17, v13
	v_sub_f32_e32 v8, v18, v14
	s_cbranch_vccz .LBB21_6
; %bb.5:                                ;   in Loop: Header=BB21_4 Depth=1
	v_mul_f32_e32 v5, v26, v8
	v_mul_f32_e32 v6, v25, v8
	v_fma_f32 v5, v25, v7, -v5
	v_fmac_f32_e32 v6, v26, v7
	v_sub_f32_e32 v5, v17, v5
	v_sub_f32_e32 v6, v18, v6
	s_mov_b64 s[2:3], 0
.LBB21_6:                               ;   in Loop: Header=BB21_4 Depth=1
	s_andn2_b64 vcc, exec, s[2:3]
	s_cbranch_vccnz .LBB21_8
; %bb.7:                                ;   in Loop: Header=BB21_4 Depth=1
	v_mul_f32_e32 v5, s13, v8
	v_mul_f32_e32 v6, s12, v8
	v_fma_f32 v5, v7, s12, -v5
	v_fmac_f32_e32 v6, s13, v7
	v_add_f32_e32 v5, v13, v5
	v_add_f32_e32 v6, v14, v6
.LBB21_8:                               ;   in Loop: Header=BB21_4 Depth=1
	v_cndmask_b32_e64 v7, 0, 1, s[0:1]
	v_sub_f32_e32 v13, v19, v15
	v_sub_f32_e32 v14, v20, v16
	v_cmp_ne_u32_e64 s[2:3], 1, v7
	s_andn2_b64 vcc, exec, s[0:1]
	s_mov_b64 s[24:25], -1
	s_cbranch_vccnz .LBB21_10
; %bb.9:                                ;   in Loop: Header=BB21_4 Depth=1
	v_mul_f32_e32 v7, v26, v14
	v_mul_f32_e32 v8, v25, v14
	v_fma_f32 v7, v25, v13, -v7
	v_fmac_f32_e32 v8, v26, v13
	v_sub_f32_e32 v7, v19, v7
	v_sub_f32_e32 v8, v20, v8
	s_mov_b64 s[24:25], 0
.LBB21_10:                              ;   in Loop: Header=BB21_4 Depth=1
	s_andn2_b64 vcc, exec, s[24:25]
	s_cbranch_vccnz .LBB21_12
; %bb.11:                               ;   in Loop: Header=BB21_4 Depth=1
	v_mul_f32_e32 v7, s13, v14
	v_mul_f32_e32 v8, s12, v14
	v_fma_f32 v7, v13, s12, -v7
	v_fmac_f32_e32 v8, s13, v13
	v_add_f32_e32 v7, v15, v7
	v_add_f32_e32 v8, v16, v8
.LBB21_12:                              ;   in Loop: Header=BB21_4 Depth=1
	s_waitcnt vmcnt(0)
	v_sub_f32_e32 v15, v9, v1
	v_sub_f32_e32 v16, v10, v2
	s_and_b64 vcc, exec, s[2:3]
	s_mov_b64 s[24:25], -1
                                        ; implicit-def: $vgpr14
	s_cbranch_vccnz .LBB21_14
; %bb.13:                               ;   in Loop: Header=BB21_4 Depth=1
	v_mul_f32_e32 v13, v26, v16
	v_mul_f32_e32 v14, v25, v16
	v_fma_f32 v13, v25, v15, -v13
	v_fmac_f32_e32 v14, v26, v15
	v_sub_f32_e32 v13, v9, v13
	v_sub_f32_e32 v14, v10, v14
	s_mov_b64 s[24:25], 0
.LBB21_14:                              ;   in Loop: Header=BB21_4 Depth=1
	s_andn2_b64 vcc, exec, s[24:25]
	s_cbranch_vccnz .LBB21_16
; %bb.15:                               ;   in Loop: Header=BB21_4 Depth=1
	v_mul_f32_e32 v9, s13, v16
	v_mul_f32_e32 v10, s12, v16
	v_fma_f32 v9, v15, s12, -v9
	v_fmac_f32_e32 v10, s13, v15
	v_add_f32_e32 v13, v1, v9
	v_add_f32_e32 v14, v2, v10
.LBB21_16:                              ;   in Loop: Header=BB21_4 Depth=1
	v_sub_f32_e32 v1, v11, v3
	v_sub_f32_e32 v2, v12, v4
	s_and_b64 vcc, exec, s[2:3]
	s_mov_b64 s[2:3], -1
	s_cbranch_vccnz .LBB21_18
; %bb.17:                               ;   in Loop: Header=BB21_4 Depth=1
	v_mul_f32_e32 v9, v26, v2
	v_mul_f32_e32 v10, v25, v2
	v_fma_f32 v9, v25, v1, -v9
	v_fmac_f32_e32 v10, v26, v1
	v_sub_f32_e32 v15, v11, v9
	v_sub_f32_e32 v16, v12, v10
	s_mov_b64 s[2:3], 0
.LBB21_18:                              ;   in Loop: Header=BB21_4 Depth=1
	s_andn2_b64 vcc, exec, s[2:3]
	s_cbranch_vccnz .LBB21_3
; %bb.19:                               ;   in Loop: Header=BB21_4 Depth=1
	v_mul_f32_e32 v9, s13, v2
	v_mul_f32_e32 v2, s12, v2
	v_fma_f32 v9, v1, s12, -v9
	v_fmac_f32_e32 v2, s13, v1
	v_add_f32_e32 v15, v3, v9
	v_add_f32_e32 v16, v4, v2
	s_branch .LBB21_3
.LBB21_20:
	s_or_b64 exec, exec, s[10:11]
	s_mov_b64 s[0:1], 0
.LBB21_21:
	s_andn2_b64 vcc, exec, s[0:1]
	s_cbranch_vccnz .LBB21_57
; %bb.22:
	v_cmp_lt_i64_e64 s[0:1], s[6:7], 1
	s_and_b64 vcc, exec, s[0:1]
	s_cbranch_vccnz .LBB21_57
; %bb.23:
	v_mov_b32_e32 v1, 0x10000
	s_load_dword s2, s[4:5], 0xc64
	v_mov_b32_e32 v2, 0
	v_cmp_lt_i64_e32 vcc, s[6:7], v[1:2]
	v_sub_f32_e64 v27, 1.0, s12
	s_and_b64 s[0:1], vcc, exec
	v_cmp_lt_u64_e32 vcc, s[6:7], v[1:2]
	s_cselect_b32 s19, s7, 0
	s_cselect_b32 s18, s6, 0x10000
	s_waitcnt lgkmcnt(0)
	s_and_b32 s26, s2, 0xffff
	s_and_b64 s[0:1], vcc, exec
	v_mul_f32_e64 v1, s13, s13
	v_fmac_f32_e64 v1, s12, s12
	s_mov_b32 s0, 0x3e800000
	s_cselect_b32 s21, s7, 0
	s_cselect_b32 s20, s6, 0x10000
	s_lshl_b32 s27, s26, 1
	s_mul_i32 s28, s26, 3
	v_cmp_ngt_f32_e64 s[0:1], s0, v1
	v_sub_f32_e64 v28, 0, s13
	s_lshl_b32 s29, s26, 2
	s_mov_b64 s[22:23], 0
	s_branch .LBB21_25
.LBB21_24:                              ;   in Loop: Header=BB21_25 Depth=1
	s_or_b64 exec, exec, s[2:3]
	s_add_u32 s22, s22, s29
	v_mov_b32_e32 v1, s18
	s_addc_u32 s23, s23, 0
	v_mov_b32_e32 v2, s19
	v_cmp_ge_i64_e32 vcc, s[22:23], v[1:2]
	s_cbranch_vccnz .LBB21_57
.LBB21_25:                              ; =>This Inner Loop Header: Depth=1
	v_mov_b32_e32 v2, s23
	v_add_co_u32_e32 v1, vcc, s22, v0
	v_addc_co_u32_e32 v2, vcc, 0, v2, vcc
	v_cmp_gt_u64_e64 s[2:3], s[20:21], v[1:2]
	v_mov_b32_e32 v26, 0
	v_mov_b32_e32 v25, 0
	;; [unrolled: 1-line block ×4, first 2 shown]
	s_and_saveexec_b64 s[4:5], s[2:3]
	s_cbranch_execz .LBB21_27
; %bb.26:                               ;   in Loop: Header=BB21_25 Depth=1
	v_lshlrev_b64 v[3:4], 3, v[1:2]
	v_mov_b32_e32 v6, s17
	v_add_co_u32_e32 v5, vcc, s16, v3
	v_addc_co_u32_e32 v6, vcc, v6, v4, vcc
	v_mov_b32_e32 v7, s15
	v_add_co_u32_e32 v3, vcc, s14, v3
	v_addc_co_u32_e32 v4, vcc, v7, v4, vcc
	global_load_dwordx2 v[17:18], v[3:4], off
	global_load_dwordx2 v[25:26], v[5:6], off
.LBB21_27:                              ;   in Loop: Header=BB21_25 Depth=1
	s_or_b64 exec, exec, s[4:5]
	v_add_co_u32_e32 v3, vcc, s26, v1
	v_addc_co_u32_e32 v4, vcc, 0, v2, vcc
	v_cmp_gt_u64_e64 s[4:5], s[20:21], v[3:4]
	v_mov_b32_e32 v10, 0
	v_mov_b32_e32 v22, 0
	;; [unrolled: 1-line block ×5, first 2 shown]
	s_and_saveexec_b64 s[6:7], s[4:5]
	s_cbranch_execz .LBB21_29
; %bb.28:                               ;   in Loop: Header=BB21_25 Depth=1
	v_lshlrev_b64 v[5:6], 3, v[3:4]
	v_mov_b32_e32 v8, s17
	v_add_co_u32_e32 v7, vcc, s16, v5
	v_addc_co_u32_e32 v8, vcc, v8, v6, vcc
	v_mov_b32_e32 v9, s15
	v_add_co_u32_e32 v5, vcc, s14, v5
	v_addc_co_u32_e32 v6, vcc, v9, v6, vcc
	global_load_dwordx2 v[11:12], v[5:6], off
	global_load_dwordx2 v[21:22], v[7:8], off
.LBB21_29:                              ;   in Loop: Header=BB21_25 Depth=1
	s_or_b64 exec, exec, s[6:7]
	v_add_co_u32_e32 v5, vcc, s27, v1
	v_addc_co_u32_e32 v6, vcc, 0, v2, vcc
	v_cmp_gt_u64_e64 s[6:7], s[20:21], v[5:6]
	v_mov_b32_e32 v9, 0
	v_mov_b32_e32 v14, 0
	;; [unrolled: 1-line block ×3, first 2 shown]
	s_and_saveexec_b64 s[8:9], s[6:7]
	s_cbranch_execz .LBB21_31
; %bb.30:                               ;   in Loop: Header=BB21_25 Depth=1
	v_lshlrev_b64 v[7:8], 3, v[5:6]
	v_mov_b32_e32 v9, s17
	v_add_co_u32_e32 v15, vcc, s16, v7
	v_addc_co_u32_e32 v16, vcc, v9, v8, vcc
	v_mov_b32_e32 v9, s15
	v_add_co_u32_e32 v7, vcc, s14, v7
	v_addc_co_u32_e32 v8, vcc, v9, v8, vcc
	global_load_dwordx2 v[13:14], v[7:8], off
	global_load_dwordx2 v[9:10], v[15:16], off
.LBB21_31:                              ;   in Loop: Header=BB21_25 Depth=1
	s_or_b64 exec, exec, s[8:9]
	v_add_co_u32_e32 v7, vcc, s28, v1
	v_addc_co_u32_e32 v8, vcc, 0, v2, vcc
	v_cmp_gt_u64_e64 s[8:9], s[20:21], v[7:8]
	v_mov_b32_e32 v24, 0
	v_mov_b32_e32 v23, 0
	;; [unrolled: 1-line block ×4, first 2 shown]
	s_and_saveexec_b64 s[10:11], s[8:9]
	s_cbranch_execz .LBB21_33
; %bb.32:                               ;   in Loop: Header=BB21_25 Depth=1
	v_lshlrev_b64 v[15:16], 3, v[7:8]
	v_mov_b32_e32 v20, s17
	v_add_co_u32_e32 v19, vcc, s16, v15
	v_addc_co_u32_e32 v20, vcc, v20, v16, vcc
	v_mov_b32_e32 v23, s15
	v_add_co_u32_e32 v29, vcc, s14, v15
	v_addc_co_u32_e32 v30, vcc, v23, v16, vcc
	global_load_dwordx2 v[15:16], v[29:30], off
	global_load_dwordx2 v[23:24], v[19:20], off
.LBB21_33:                              ;   in Loop: Header=BB21_25 Depth=1
	s_or_b64 exec, exec, s[10:11]
	s_waitcnt vmcnt(0)
	v_sub_f32_e32 v30, v25, v17
	v_sub_f32_e32 v29, v26, v18
	s_mov_b64 s[10:11], -1
	s_and_b64 vcc, exec, s[0:1]
                                        ; implicit-def: $vgpr20
	s_cbranch_vccz .LBB21_35
; %bb.34:                               ;   in Loop: Header=BB21_25 Depth=1
	v_mul_f32_e32 v19, v28, v29
	v_mul_f32_e32 v20, v28, v30
	v_fma_f32 v19, v27, v30, -v19
	v_fmac_f32_e32 v20, v27, v29
	v_sub_f32_e32 v19, v25, v19
	v_sub_f32_e32 v20, v26, v20
	s_mov_b64 s[10:11], 0
.LBB21_35:                              ;   in Loop: Header=BB21_25 Depth=1
	s_andn2_b64 vcc, exec, s[10:11]
	s_cbranch_vccnz .LBB21_37
; %bb.36:                               ;   in Loop: Header=BB21_25 Depth=1
	v_mul_f32_e32 v19, s13, v29
	v_mul_f32_e32 v20, s13, v30
	v_fma_f32 v19, v30, s12, -v19
	v_fmac_f32_e32 v20, s12, v29
	v_add_f32_e32 v19, v17, v19
	v_add_f32_e32 v20, v18, v20
.LBB21_37:                              ;   in Loop: Header=BB21_25 Depth=1
	v_cndmask_b32_e64 v17, 0, 1, s[0:1]
	v_sub_f32_e32 v26, v21, v11
	v_sub_f32_e32 v25, v22, v12
	v_cmp_ne_u32_e64 s[10:11], 1, v17
	s_andn2_b64 vcc, exec, s[0:1]
	s_mov_b64 s[24:25], -1
                                        ; implicit-def: $vgpr18
	s_cbranch_vccnz .LBB21_39
; %bb.38:                               ;   in Loop: Header=BB21_25 Depth=1
	v_mul_f32_e32 v17, v28, v25
	v_mul_f32_e32 v18, v28, v26
	v_fma_f32 v17, v27, v26, -v17
	v_fmac_f32_e32 v18, v27, v25
	v_sub_f32_e32 v17, v21, v17
	v_sub_f32_e32 v18, v22, v18
	s_mov_b64 s[24:25], 0
.LBB21_39:                              ;   in Loop: Header=BB21_25 Depth=1
	s_andn2_b64 vcc, exec, s[24:25]
	s_cbranch_vccnz .LBB21_41
; %bb.40:                               ;   in Loop: Header=BB21_25 Depth=1
	v_mul_f32_e32 v17, s13, v25
	v_mul_f32_e32 v18, s13, v26
	v_fma_f32 v17, v26, s12, -v17
	v_fmac_f32_e32 v18, s12, v25
	v_add_f32_e32 v17, v11, v17
	v_add_f32_e32 v18, v12, v18
.LBB21_41:                              ;   in Loop: Header=BB21_25 Depth=1
	v_sub_f32_e32 v22, v9, v13
	v_sub_f32_e32 v21, v10, v14
	s_and_b64 vcc, exec, s[10:11]
	s_mov_b64 s[24:25], -1
                                        ; implicit-def: $vgpr12
	s_cbranch_vccnz .LBB21_43
; %bb.42:                               ;   in Loop: Header=BB21_25 Depth=1
	v_mul_f32_e32 v11, v28, v21
	v_mul_f32_e32 v12, v28, v22
	v_fma_f32 v11, v27, v22, -v11
	v_fmac_f32_e32 v12, v27, v21
	v_sub_f32_e32 v11, v9, v11
	v_sub_f32_e32 v12, v10, v12
	s_mov_b64 s[24:25], 0
.LBB21_43:                              ;   in Loop: Header=BB21_25 Depth=1
	s_andn2_b64 vcc, exec, s[24:25]
	s_cbranch_vccnz .LBB21_45
; %bb.44:                               ;   in Loop: Header=BB21_25 Depth=1
	v_mul_f32_e32 v9, s13, v21
	v_mul_f32_e32 v10, s13, v22
	v_fma_f32 v9, v22, s12, -v9
	v_fmac_f32_e32 v10, s12, v21
	v_add_f32_e32 v11, v13, v9
	v_add_f32_e32 v12, v14, v10
.LBB21_45:                              ;   in Loop: Header=BB21_25 Depth=1
	v_sub_f32_e32 v14, v23, v15
	v_sub_f32_e32 v13, v24, v16
	s_and_b64 vcc, exec, s[10:11]
	s_mov_b64 s[10:11], -1
                                        ; implicit-def: $vgpr10
	s_cbranch_vccz .LBB21_51
; %bb.46:                               ;   in Loop: Header=BB21_25 Depth=1
	s_andn2_b64 vcc, exec, s[10:11]
	s_cbranch_vccz .LBB21_52
.LBB21_47:                              ;   in Loop: Header=BB21_25 Depth=1
	s_and_saveexec_b64 s[10:11], s[2:3]
	s_xor_b64 s[2:3], exec, s[10:11]
	s_cbranch_execnz .LBB21_53
.LBB21_48:                              ;   in Loop: Header=BB21_25 Depth=1
	s_or_b64 exec, exec, s[2:3]
	s_and_saveexec_b64 s[2:3], s[4:5]
	s_cbranch_execnz .LBB21_54
.LBB21_49:                              ;   in Loop: Header=BB21_25 Depth=1
	s_or_b64 exec, exec, s[2:3]
	s_and_saveexec_b64 s[2:3], s[6:7]
	s_cbranch_execnz .LBB21_55
.LBB21_50:                              ;   in Loop: Header=BB21_25 Depth=1
	s_or_b64 exec, exec, s[2:3]
	s_and_saveexec_b64 s[2:3], s[8:9]
	s_cbranch_execz .LBB21_24
	s_branch .LBB21_56
.LBB21_51:                              ;   in Loop: Header=BB21_25 Depth=1
	v_mul_f32_e32 v9, v28, v13
	v_mul_f32_e32 v10, v28, v14
	v_fma_f32 v9, v27, v14, -v9
	v_fmac_f32_e32 v10, v27, v13
	v_sub_f32_e32 v9, v23, v9
	v_sub_f32_e32 v10, v24, v10
	s_cbranch_execnz .LBB21_47
.LBB21_52:                              ;   in Loop: Header=BB21_25 Depth=1
	v_mul_f32_e32 v9, s13, v13
	v_mul_f32_e32 v10, s13, v14
	v_fma_f32 v9, v14, s12, -v9
	v_fmac_f32_e32 v10, s12, v13
	v_add_f32_e32 v9, v15, v9
	v_add_f32_e32 v10, v16, v10
	s_and_saveexec_b64 s[10:11], s[2:3]
	s_xor_b64 s[2:3], exec, s[10:11]
	s_cbranch_execz .LBB21_48
.LBB21_53:                              ;   in Loop: Header=BB21_25 Depth=1
	v_lshlrev_b64 v[1:2], 3, v[1:2]
	v_mov_b32_e32 v13, s15
	v_add_co_u32_e32 v1, vcc, s14, v1
	v_addc_co_u32_e32 v2, vcc, v13, v2, vcc
	global_store_dwordx2 v[1:2], v[19:20], off
	s_or_b64 exec, exec, s[2:3]
	s_and_saveexec_b64 s[2:3], s[4:5]
	s_cbranch_execz .LBB21_49
.LBB21_54:                              ;   in Loop: Header=BB21_25 Depth=1
	v_lshlrev_b64 v[1:2], 3, v[3:4]
	v_mov_b32_e32 v3, s15
	v_add_co_u32_e32 v1, vcc, s14, v1
	v_addc_co_u32_e32 v2, vcc, v3, v2, vcc
	global_store_dwordx2 v[1:2], v[17:18], off
	s_or_b64 exec, exec, s[2:3]
	s_and_saveexec_b64 s[2:3], s[6:7]
	s_cbranch_execz .LBB21_50
.LBB21_55:                              ;   in Loop: Header=BB21_25 Depth=1
	v_lshlrev_b64 v[1:2], 3, v[5:6]
	v_mov_b32_e32 v3, s15
	v_add_co_u32_e32 v1, vcc, s14, v1
	v_addc_co_u32_e32 v2, vcc, v3, v2, vcc
	global_store_dwordx2 v[1:2], v[11:12], off
	s_or_b64 exec, exec, s[2:3]
	s_and_saveexec_b64 s[2:3], s[8:9]
	s_cbranch_execz .LBB21_24
.LBB21_56:                              ;   in Loop: Header=BB21_25 Depth=1
	v_lshlrev_b64 v[1:2], 3, v[7:8]
	v_mov_b32_e32 v3, s15
	v_add_co_u32_e32 v1, vcc, s14, v1
	v_addc_co_u32_e32 v2, vcc, v3, v2, vcc
	global_store_dwordx2 v[1:2], v[9:10], off
	s_branch .LBB21_24
.LBB21_57:
	s_endpgm
	.section	.rodata,"a",@progbits
	.p2align	6, 0x0
	.amdhsa_kernel _ZN2at6native12_GLOBAL__N_125multi_tensor_apply_kernelINS1_18TensorListMetadataILi2EEENS1_22TernaryOpScalarFunctorIN3c107complexIfEELi2ELi2ELi0EEEJNS0_11LerpFunctorIS8_EES8_EEEvT_T0_DpT1_
		.amdhsa_group_segment_fixed_size 0
		.amdhsa_private_segment_fixed_size 0
		.amdhsa_kernarg_size 3416
		.amdhsa_user_sgpr_count 6
		.amdhsa_user_sgpr_private_segment_buffer 1
		.amdhsa_user_sgpr_dispatch_ptr 0
		.amdhsa_user_sgpr_queue_ptr 0
		.amdhsa_user_sgpr_kernarg_segment_ptr 1
		.amdhsa_user_sgpr_dispatch_id 0
		.amdhsa_user_sgpr_flat_scratch_init 0
		.amdhsa_user_sgpr_private_segment_size 0
		.amdhsa_uses_dynamic_stack 0
		.amdhsa_system_sgpr_private_segment_wavefront_offset 0
		.amdhsa_system_sgpr_workgroup_id_x 1
		.amdhsa_system_sgpr_workgroup_id_y 0
		.amdhsa_system_sgpr_workgroup_id_z 0
		.amdhsa_system_sgpr_workgroup_info 0
		.amdhsa_system_vgpr_workitem_id 0
		.amdhsa_next_free_vgpr 31
		.amdhsa_next_free_sgpr 30
		.amdhsa_reserve_vcc 1
		.amdhsa_reserve_flat_scratch 0
		.amdhsa_float_round_mode_32 0
		.amdhsa_float_round_mode_16_64 0
		.amdhsa_float_denorm_mode_32 3
		.amdhsa_float_denorm_mode_16_64 3
		.amdhsa_dx10_clamp 1
		.amdhsa_ieee_mode 1
		.amdhsa_fp16_overflow 0
		.amdhsa_exception_fp_ieee_invalid_op 0
		.amdhsa_exception_fp_denorm_src 0
		.amdhsa_exception_fp_ieee_div_zero 0
		.amdhsa_exception_fp_ieee_overflow 0
		.amdhsa_exception_fp_ieee_underflow 0
		.amdhsa_exception_fp_ieee_inexact 0
		.amdhsa_exception_int_div_zero 0
	.end_amdhsa_kernel
	.section	.text._ZN2at6native12_GLOBAL__N_125multi_tensor_apply_kernelINS1_18TensorListMetadataILi2EEENS1_22TernaryOpScalarFunctorIN3c107complexIfEELi2ELi2ELi0EEEJNS0_11LerpFunctorIS8_EES8_EEEvT_T0_DpT1_,"axG",@progbits,_ZN2at6native12_GLOBAL__N_125multi_tensor_apply_kernelINS1_18TensorListMetadataILi2EEENS1_22TernaryOpScalarFunctorIN3c107complexIfEELi2ELi2ELi0EEEJNS0_11LerpFunctorIS8_EES8_EEEvT_T0_DpT1_,comdat
.Lfunc_end21:
	.size	_ZN2at6native12_GLOBAL__N_125multi_tensor_apply_kernelINS1_18TensorListMetadataILi2EEENS1_22TernaryOpScalarFunctorIN3c107complexIfEELi2ELi2ELi0EEEJNS0_11LerpFunctorIS8_EES8_EEEvT_T0_DpT1_, .Lfunc_end21-_ZN2at6native12_GLOBAL__N_125multi_tensor_apply_kernelINS1_18TensorListMetadataILi2EEENS1_22TernaryOpScalarFunctorIN3c107complexIfEELi2ELi2ELi0EEEJNS0_11LerpFunctorIS8_EES8_EEEvT_T0_DpT1_
                                        ; -- End function
	.set _ZN2at6native12_GLOBAL__N_125multi_tensor_apply_kernelINS1_18TensorListMetadataILi2EEENS1_22TernaryOpScalarFunctorIN3c107complexIfEELi2ELi2ELi0EEEJNS0_11LerpFunctorIS8_EES8_EEEvT_T0_DpT1_.num_vgpr, 31
	.set _ZN2at6native12_GLOBAL__N_125multi_tensor_apply_kernelINS1_18TensorListMetadataILi2EEENS1_22TernaryOpScalarFunctorIN3c107complexIfEELi2ELi2ELi0EEEJNS0_11LerpFunctorIS8_EES8_EEEvT_T0_DpT1_.num_agpr, 0
	.set _ZN2at6native12_GLOBAL__N_125multi_tensor_apply_kernelINS1_18TensorListMetadataILi2EEENS1_22TernaryOpScalarFunctorIN3c107complexIfEELi2ELi2ELi0EEEJNS0_11LerpFunctorIS8_EES8_EEEvT_T0_DpT1_.numbered_sgpr, 30
	.set _ZN2at6native12_GLOBAL__N_125multi_tensor_apply_kernelINS1_18TensorListMetadataILi2EEENS1_22TernaryOpScalarFunctorIN3c107complexIfEELi2ELi2ELi0EEEJNS0_11LerpFunctorIS8_EES8_EEEvT_T0_DpT1_.num_named_barrier, 0
	.set _ZN2at6native12_GLOBAL__N_125multi_tensor_apply_kernelINS1_18TensorListMetadataILi2EEENS1_22TernaryOpScalarFunctorIN3c107complexIfEELi2ELi2ELi0EEEJNS0_11LerpFunctorIS8_EES8_EEEvT_T0_DpT1_.private_seg_size, 0
	.set _ZN2at6native12_GLOBAL__N_125multi_tensor_apply_kernelINS1_18TensorListMetadataILi2EEENS1_22TernaryOpScalarFunctorIN3c107complexIfEELi2ELi2ELi0EEEJNS0_11LerpFunctorIS8_EES8_EEEvT_T0_DpT1_.uses_vcc, 1
	.set _ZN2at6native12_GLOBAL__N_125multi_tensor_apply_kernelINS1_18TensorListMetadataILi2EEENS1_22TernaryOpScalarFunctorIN3c107complexIfEELi2ELi2ELi0EEEJNS0_11LerpFunctorIS8_EES8_EEEvT_T0_DpT1_.uses_flat_scratch, 0
	.set _ZN2at6native12_GLOBAL__N_125multi_tensor_apply_kernelINS1_18TensorListMetadataILi2EEENS1_22TernaryOpScalarFunctorIN3c107complexIfEELi2ELi2ELi0EEEJNS0_11LerpFunctorIS8_EES8_EEEvT_T0_DpT1_.has_dyn_sized_stack, 0
	.set _ZN2at6native12_GLOBAL__N_125multi_tensor_apply_kernelINS1_18TensorListMetadataILi2EEENS1_22TernaryOpScalarFunctorIN3c107complexIfEELi2ELi2ELi0EEEJNS0_11LerpFunctorIS8_EES8_EEEvT_T0_DpT1_.has_recursion, 0
	.set _ZN2at6native12_GLOBAL__N_125multi_tensor_apply_kernelINS1_18TensorListMetadataILi2EEENS1_22TernaryOpScalarFunctorIN3c107complexIfEELi2ELi2ELi0EEEJNS0_11LerpFunctorIS8_EES8_EEEvT_T0_DpT1_.has_indirect_call, 0
	.section	.AMDGPU.csdata,"",@progbits
; Kernel info:
; codeLenInByte = 1996
; TotalNumSgprs: 34
; NumVgprs: 31
; ScratchSize: 0
; MemoryBound: 1
; FloatMode: 240
; IeeeMode: 1
; LDSByteSize: 0 bytes/workgroup (compile time only)
; SGPRBlocks: 4
; VGPRBlocks: 7
; NumSGPRsForWavesPerEU: 34
; NumVGPRsForWavesPerEU: 31
; Occupancy: 8
; WaveLimiterHint : 0
; COMPUTE_PGM_RSRC2:SCRATCH_EN: 0
; COMPUTE_PGM_RSRC2:USER_SGPR: 6
; COMPUTE_PGM_RSRC2:TRAP_HANDLER: 0
; COMPUTE_PGM_RSRC2:TGID_X_EN: 1
; COMPUTE_PGM_RSRC2:TGID_Y_EN: 0
; COMPUTE_PGM_RSRC2:TGID_Z_EN: 0
; COMPUTE_PGM_RSRC2:TIDIG_COMP_CNT: 0
	.section	.text._ZN2at6native12_GLOBAL__N_125multi_tensor_apply_kernelINS1_18TensorListMetadataILi2EEENS1_22TernaryOpScalarFunctorIN3c104HalfELi2ELi2ELi0EEEJNS0_11LerpFunctorIfEEfEEEvT_T0_DpT1_,"axG",@progbits,_ZN2at6native12_GLOBAL__N_125multi_tensor_apply_kernelINS1_18TensorListMetadataILi2EEENS1_22TernaryOpScalarFunctorIN3c104HalfELi2ELi2ELi0EEEJNS0_11LerpFunctorIfEEfEEEvT_T0_DpT1_,comdat
	.globl	_ZN2at6native12_GLOBAL__N_125multi_tensor_apply_kernelINS1_18TensorListMetadataILi2EEENS1_22TernaryOpScalarFunctorIN3c104HalfELi2ELi2ELi0EEEJNS0_11LerpFunctorIfEEfEEEvT_T0_DpT1_ ; -- Begin function _ZN2at6native12_GLOBAL__N_125multi_tensor_apply_kernelINS1_18TensorListMetadataILi2EEENS1_22TernaryOpScalarFunctorIN3c104HalfELi2ELi2ELi0EEEJNS0_11LerpFunctorIfEEfEEEvT_T0_DpT1_
	.p2align	8
	.type	_ZN2at6native12_GLOBAL__N_125multi_tensor_apply_kernelINS1_18TensorListMetadataILi2EEENS1_22TernaryOpScalarFunctorIN3c104HalfELi2ELi2ELi0EEEJNS0_11LerpFunctorIfEEfEEEvT_T0_DpT1_,@function
_ZN2at6native12_GLOBAL__N_125multi_tensor_apply_kernelINS1_18TensorListMetadataILi2EEENS1_22TernaryOpScalarFunctorIN3c104HalfELi2ELi2ELi0EEEJNS0_11LerpFunctorIfEEfEEEvT_T0_DpT1_: ; @_ZN2at6native12_GLOBAL__N_125multi_tensor_apply_kernelINS1_18TensorListMetadataILi2EEENS1_22TernaryOpScalarFunctorIN3c104HalfELi2ELi2ELi0EEEJNS0_11LerpFunctorIfEEfEEEvT_T0_DpT1_
; %bb.0:
	v_mov_b32_e32 v1, s6
	global_load_ubyte v1, v1, s[4:5] offset:1536
	s_add_u32 s0, s4, s6
	s_mul_hi_u32 s3, s6, 3
	s_mul_i32 s6, s6, 3
	s_addc_u32 s7, s5, 0
	s_add_u32 s2, s0, s6
	s_addc_u32 s3, s7, s3
	s_load_dword s8, s[2:3], 0x740
	s_mov_b32 s1, 0
	s_mov_b32 s13, s1
	s_waitcnt lgkmcnt(0)
	s_ashr_i32 s9, s8, 31
	s_lshl_b64 s[10:11], s[8:9], 17
	s_lshl_b64 s[8:9], s[8:9], 16
	s_waitcnt vmcnt(0)
	v_readfirstlane_b32 s0, v1
	s_lshl_b32 s0, s0, 3
	s_load_dword s20, s[4:5], 0xc4c
	s_load_dwordx2 s[14:15], s[4:5], s0 offset:0x400
	s_load_dwordx2 s[6:7], s[4:5], s0 offset:0x0
	;; [unrolled: 1-line block ×3, first 2 shown]
	s_waitcnt lgkmcnt(0)
	s_add_u32 s0, s6, s10
	s_and_b32 s12, s2, 7
	s_and_b32 s0, s0, 7
	s_sub_u32 s8, s14, s8
	s_subb_u32 s9, s15, s9
	s_and_b32 s14, s14, 3
	s_mov_b32 s15, s1
	s_or_b64 s[12:13], s[12:13], s[14:15]
	s_or_b64 s[0:1], s[12:13], s[0:1]
	s_cmp_eq_u64 s[0:1], 0
	s_mov_b64 s[0:1], -1
	s_cbranch_scc0 .LBB22_5
; %bb.1:
	v_mov_b32_e32 v1, 0x10000
	v_mov_b32_e32 v2, 0
	v_cmp_lt_i64_e32 vcc, s[8:9], v[1:2]
	v_mov_b32_e32 v2, 0
	s_and_b64 s[0:1], vcc, exec
	s_cselect_b32 s13, s9, 0
	s_cselect_b32 s12, s8, 0x10000
	v_lshlrev_b32_e32 v1, 2, v0
	v_cmp_gt_i64_e32 vcc, s[12:13], v[1:2]
	s_and_saveexec_b64 s[14:15], vcc
	s_cbranch_execz .LBB22_4
; %bb.2:
	s_load_dword s0, s[4:5], 0xc5c
	v_mov_b32_e32 v1, v2
	v_lshlrev_b32_e32 v2, 3, v0
	v_mov_b32_e32 v5, s11
	v_cmp_lt_f32_e64 vcc, |s20|, 0.5
	s_waitcnt lgkmcnt(0)
	s_and_b32 s18, s0, 0xffff
	v_add_co_u32_e64 v4, s[0:1], s10, v2
	v_mov_b32_e32 v2, v1
	v_sub_f32_e64 v3, 1.0, s20
	v_addc_co_u32_e64 v5, s[0:1], 0, v5, s[0:1]
	s_lshl_b32 s19, s18, 3
	s_mov_b64 s[16:17], 0
	v_mov_b32_e32 v6, s7
	v_mov_b32_e32 v7, s3
	v_mov_b32_e32 v1, v0
.LBB22_3:                               ; =>This Inner Loop Header: Depth=1
	v_add_co_u32_e64 v8, s[0:1], s6, v4
	v_addc_co_u32_e64 v9, s[0:1], v6, v5, s[0:1]
	v_add_co_u32_e64 v10, s[0:1], s2, v4
	v_addc_co_u32_e64 v11, s[0:1], v7, v5, s[0:1]
	global_load_dwordx2 v[12:13], v[8:9], off
	global_load_dwordx2 v[14:15], v[10:11], off
	v_add_co_u32_e64 v1, s[0:1], s18, v1
	v_addc_co_u32_e64 v2, s[0:1], 0, v2, s[0:1]
	v_add_co_u32_e64 v4, s[0:1], s19, v4
	v_lshlrev_b64 v[10:11], 2, v[1:2]
	v_addc_co_u32_e64 v5, s[0:1], 0, v5, s[0:1]
	v_cmp_le_i64_e64 s[0:1], s[12:13], v[10:11]
	s_or_b64 s[16:17], s[0:1], s[16:17]
	s_waitcnt vmcnt(1)
	v_cvt_f32_f16_e32 v16, v12
	s_waitcnt vmcnt(0)
	v_cvt_f32_f16_e32 v17, v14
	v_cvt_f32_f16_sdwa v18, v12 dst_sel:DWORD dst_unused:UNUSED_PAD src0_sel:WORD_1
	v_cvt_f32_f16_sdwa v19, v14 dst_sel:DWORD dst_unused:UNUSED_PAD src0_sel:WORD_1
	v_cvt_f32_f16_e32 v20, v13
	v_cvt_f32_f16_e32 v21, v15
	v_cvt_f32_f16_sdwa v22, v13 dst_sel:DWORD dst_unused:UNUSED_PAD src0_sel:WORD_1
	v_cvt_f32_f16_sdwa v23, v15 dst_sel:DWORD dst_unused:UNUSED_PAD src0_sel:WORD_1
	v_sub_f32_e32 v16, v17, v16
	v_sub_f32_e32 v17, v19, v18
	;; [unrolled: 1-line block ×4, first 2 shown]
	v_fma_mix_f32 v20, s20, v16, v12 op_sel_hi:[0,0,1]
	v_fma_mix_f32 v16, -v3, v16, v14 op_sel_hi:[0,0,1]
	v_fma_mix_f32 v12, s20, v17, v12 op_sel:[0,0,1] op_sel_hi:[0,0,1]
	v_fma_mix_f32 v14, -v3, v17, v14 op_sel:[0,0,1] op_sel_hi:[0,0,1]
	v_fma_mix_f32 v17, s20, v18, v13 op_sel_hi:[0,0,1]
	v_fma_mix_f32 v18, -v3, v18, v15 op_sel_hi:[0,0,1]
	v_fma_mix_f32 v13, s20, v19, v13 op_sel:[0,0,1] op_sel_hi:[0,0,1]
	v_fma_mix_f32 v15, -v3, v19, v15 op_sel:[0,0,1] op_sel_hi:[0,0,1]
	v_cndmask_b32_e32 v16, v16, v20, vcc
	v_cndmask_b32_e32 v12, v14, v12, vcc
	;; [unrolled: 1-line block ×4, first 2 shown]
	v_cvt_f16_f32_e32 v15, v16
	v_cvt_f16_f32_e32 v12, v12
	;; [unrolled: 1-line block ×4, first 2 shown]
	v_pack_b32_f16 v10, v15, v12
	v_pack_b32_f16 v11, v14, v13
	global_store_dwordx2 v[8:9], v[10:11], off
	s_andn2_b64 exec, exec, s[16:17]
	s_cbranch_execnz .LBB22_3
.LBB22_4:
	s_or_b64 exec, exec, s[14:15]
	s_mov_b64 s[0:1], 0
.LBB22_5:
	s_andn2_b64 vcc, exec, s[0:1]
	s_cbranch_vccnz .LBB22_25
; %bb.6:
	v_cmp_lt_i64_e64 s[0:1], s[8:9], 1
	s_and_b64 vcc, exec, s[0:1]
	s_cbranch_vccnz .LBB22_25
; %bb.7:
	v_mov_b32_e32 v1, 0x10000
	s_load_dword s4, s[4:5], 0xc5c
	v_mov_b32_e32 v2, 0
	v_cmp_lt_i64_e32 vcc, s[8:9], v[1:2]
	v_mov_b32_e32 v10, 0
	s_and_b64 s[0:1], vcc, exec
	v_cmp_lt_u64_e32 vcc, s[8:9], v[1:2]
	s_cselect_b32 s13, s9, 0
	s_cselect_b32 s12, s8, 0x10000
	s_waitcnt lgkmcnt(0)
	s_and_b32 s16, s4, 0xffff
	v_lshlrev_b32_e32 v9, 1, v0
	s_and_b64 s[0:1], vcc, exec
	v_mov_b32_e32 v2, s7
	v_add_co_u32_e32 v1, vcc, s6, v9
	v_mad_u64_u32 v[7:8], s[4:5], s16, 6, v[9:10]
	v_addc_co_u32_e32 v2, vcc, 0, v2, vcc
	v_mov_b32_e32 v4, s3
	v_add_co_u32_e32 v3, vcc, s2, v9
	v_addc_co_u32_e32 v4, vcc, 0, v4, vcc
	v_mov_b32_e32 v6, s7
	v_add_co_u32_e32 v5, vcc, s6, v7
	;; [unrolled: 3-line block ×3, first 2 shown]
	s_cselect_b32 s15, s9, 0
	s_cselect_b32 s14, s8, 0x10000
	s_lshl_b32 s21, s16, 2
	v_addc_co_u32_e32 v8, vcc, v10, v8, vcc
	v_add_co_u32_e32 v11, vcc, s21, v9
	v_addc_co_u32_e64 v12, s[4:5], 0, 0, vcc
	v_mov_b32_e32 v10, s7
	v_add_co_u32_e32 v9, vcc, s6, v11
	v_addc_co_u32_e32 v10, vcc, v10, v12, vcc
	v_mov_b32_e32 v13, s3
	v_add_co_u32_e32 v11, vcc, s2, v11
	v_addc_co_u32_e32 v12, vcc, v13, v12, vcc
	v_add_co_u32_e32 v13, vcc, s16, v0
	v_lshlrev_b32_e32 v17, 1, v13
	v_addc_co_u32_e64 v14, s[4:5], 0, 0, vcc
	v_mov_b32_e32 v16, s7
	v_add_co_u32_e32 v15, vcc, s6, v17
	v_addc_co_u32_e32 v16, vcc, 0, v16, vcc
	v_mov_b32_e32 v18, s3
	v_add_co_u32_e32 v17, vcc, s2, v17
	s_mul_i32 s9, s16, 3
	v_addc_co_u32_e32 v18, vcc, 0, v18, vcc
	s_lshl_b32 s8, s16, 1
	v_add_co_u32_e32 v20, vcc, s9, v0
	v_addc_co_u32_e64 v21, s[2:3], 0, 0, vcc
	v_add_co_u32_e32 v22, vcc, s8, v0
	v_cmp_lt_f32_e64 s[0:1], |s20|, 0.5
	s_lshl_b32 s22, s16, 3
	s_mov_b64 s[16:17], 0
	v_sub_f32_e64 v19, 1.0, s20
	v_addc_co_u32_e64 v23, s[2:3], 0, 0, vcc
	s_branch .LBB22_9
.LBB22_8:                               ;   in Loop: Header=BB22_9 Depth=1
	s_or_b64 exec, exec, s[2:3]
	v_add_co_u32_e32 v1, vcc, s22, v1
	v_addc_co_u32_e32 v2, vcc, 0, v2, vcc
	v_add_co_u32_e32 v3, vcc, s22, v3
	v_addc_co_u32_e32 v4, vcc, 0, v4, vcc
	;; [unrolled: 2-line block ×6, first 2 shown]
	s_add_u32 s16, s16, s21
	v_add_co_u32_e32 v15, vcc, s22, v15
	v_mov_b32_e32 v25, s13
	s_addc_u32 s17, s17, 0
	v_addc_co_u32_e32 v16, vcc, 0, v16, vcc
	v_mov_b32_e32 v24, s12
	v_cmp_ge_i64_e32 vcc, s[16:17], v[24:25]
	v_add_co_u32_e64 v17, s[2:3], s22, v17
	v_addc_co_u32_e64 v18, s[2:3], 0, v18, s[2:3]
	s_cbranch_vccnz .LBB22_25
.LBB22_9:                               ; =>This Inner Loop Header: Depth=1
	v_mov_b32_e32 v25, s17
	v_add_co_u32_e32 v24, vcc, s16, v0
	v_addc_co_u32_e32 v25, vcc, 0, v25, vcc
	v_cmp_gt_u64_e32 vcc, s[14:15], v[24:25]
	v_mov_b32_e32 v26, 0
	v_mov_b32_e32 v24, 0
	s_and_saveexec_b64 s[4:5], vcc
	s_cbranch_execz .LBB22_11
; %bb.10:                               ;   in Loop: Header=BB22_9 Depth=1
	v_mov_b32_e32 v27, s11
	v_add_co_u32_e64 v24, s[2:3], s10, v3
	v_addc_co_u32_e64 v25, s[2:3], v4, v27, s[2:3]
	v_add_co_u32_e64 v26, s[2:3], s10, v1
	v_addc_co_u32_e64 v27, s[2:3], v2, v27, s[2:3]
	global_load_ushort v28, v[26:27], off
	global_load_ushort v29, v[24:25], off
	s_waitcnt vmcnt(1)
	v_cvt_f32_f16_e32 v24, v28
	s_waitcnt vmcnt(0)
	v_cvt_f32_f16_e32 v26, v29
.LBB22_11:                              ;   in Loop: Header=BB22_9 Depth=1
	s_or_b64 exec, exec, s[4:5]
	v_mov_b32_e32 v25, s17
	v_add_co_u32_e64 v27, s[2:3], s16, v13
	v_addc_co_u32_e64 v28, s[2:3], v14, v25, s[2:3]
	v_cmp_gt_u64_e64 s[2:3], s[14:15], v[27:28]
	v_mov_b32_e32 v25, 0
	v_mov_b32_e32 v28, 0
	;; [unrolled: 1-line block ×3, first 2 shown]
	s_and_saveexec_b64 s[6:7], s[2:3]
	s_cbranch_execz .LBB22_13
; %bb.12:                               ;   in Loop: Header=BB22_9 Depth=1
	v_mov_b32_e32 v30, s11
	v_add_co_u32_e64 v27, s[4:5], s10, v17
	v_addc_co_u32_e64 v28, s[4:5], v18, v30, s[4:5]
	v_add_co_u32_e64 v29, s[4:5], s10, v15
	v_addc_co_u32_e64 v30, s[4:5], v16, v30, s[4:5]
	global_load_ushort v31, v[29:30], off
	global_load_ushort v32, v[27:28], off
	s_waitcnt vmcnt(1)
	v_cvt_f32_f16_e32 v27, v31
	s_waitcnt vmcnt(0)
	v_cvt_f32_f16_e32 v28, v32
.LBB22_13:                              ;   in Loop: Header=BB22_9 Depth=1
	s_or_b64 exec, exec, s[6:7]
	v_mov_b32_e32 v30, s17
	v_add_co_u32_e64 v29, s[4:5], s16, v22
	v_addc_co_u32_e64 v30, s[4:5], v23, v30, s[4:5]
	v_cmp_gt_u64_e64 s[4:5], s[14:15], v[29:30]
	v_mov_b32_e32 v29, 0
	s_and_saveexec_b64 s[8:9], s[4:5]
	s_cbranch_execz .LBB22_15
; %bb.14:                               ;   in Loop: Header=BB22_9 Depth=1
	v_mov_b32_e32 v25, s11
	v_add_co_u32_e64 v29, s[6:7], s10, v11
	v_addc_co_u32_e64 v30, s[6:7], v12, v25, s[6:7]
	v_add_co_u32_e64 v31, s[6:7], s10, v9
	v_addc_co_u32_e64 v32, s[6:7], v10, v25, s[6:7]
	global_load_ushort v25, v[31:32], off
	global_load_ushort v33, v[29:30], off
	s_waitcnt vmcnt(1)
	v_cvt_f32_f16_e32 v29, v25
	s_waitcnt vmcnt(0)
	v_cvt_f32_f16_e32 v25, v33
.LBB22_15:                              ;   in Loop: Header=BB22_9 Depth=1
	s_or_b64 exec, exec, s[8:9]
	v_mov_b32_e32 v31, s17
	v_add_co_u32_e64 v30, s[6:7], s16, v20
	v_addc_co_u32_e64 v31, s[6:7], v21, v31, s[6:7]
	v_cmp_gt_u64_e64 s[6:7], s[14:15], v[30:31]
	v_mov_b32_e32 v30, 0
	v_mov_b32_e32 v31, 0
	s_and_saveexec_b64 s[18:19], s[6:7]
	s_cbranch_execnz .LBB22_20
; %bb.16:                               ;   in Loop: Header=BB22_9 Depth=1
	s_or_b64 exec, exec, s[18:19]
	s_and_saveexec_b64 s[8:9], vcc
	s_cbranch_execnz .LBB22_21
.LBB22_17:                              ;   in Loop: Header=BB22_9 Depth=1
	s_or_b64 exec, exec, s[8:9]
	s_and_saveexec_b64 s[8:9], s[2:3]
	s_cbranch_execnz .LBB22_22
.LBB22_18:                              ;   in Loop: Header=BB22_9 Depth=1
	s_or_b64 exec, exec, s[8:9]
	s_and_saveexec_b64 s[2:3], s[4:5]
	s_cbranch_execnz .LBB22_23
.LBB22_19:                              ;   in Loop: Header=BB22_9 Depth=1
	s_or_b64 exec, exec, s[2:3]
	s_and_saveexec_b64 s[2:3], s[6:7]
	s_cbranch_execz .LBB22_8
	s_branch .LBB22_24
.LBB22_20:                              ;   in Loop: Header=BB22_9 Depth=1
	v_mov_b32_e32 v33, s11
	v_add_co_u32_e64 v30, s[8:9], s10, v7
	v_addc_co_u32_e64 v31, s[8:9], v8, v33, s[8:9]
	v_add_co_u32_e64 v32, s[8:9], s10, v5
	v_addc_co_u32_e64 v33, s[8:9], v6, v33, s[8:9]
	global_load_ushort v34, v[32:33], off
	global_load_ushort v35, v[30:31], off
	s_waitcnt vmcnt(1)
	v_cvt_f32_f16_e32 v31, v34
	s_waitcnt vmcnt(0)
	v_cvt_f32_f16_e32 v30, v35
	s_or_b64 exec, exec, s[18:19]
	s_and_saveexec_b64 s[8:9], vcc
	s_cbranch_execz .LBB22_17
.LBB22_21:                              ;   in Loop: Header=BB22_9 Depth=1
	v_sub_f32_e32 v32, v26, v24
	v_fmac_f32_e32 v24, s20, v32
	v_fma_f32 v26, -v19, v32, v26
	v_cndmask_b32_e64 v24, v26, v24, s[0:1]
	v_cvt_f16_f32_e32 v24, v24
	v_mov_b32_e32 v33, s11
	v_add_co_u32_e32 v32, vcc, s10, v1
	v_addc_co_u32_e32 v33, vcc, v2, v33, vcc
	global_store_short v[32:33], v24, off
	s_or_b64 exec, exec, s[8:9]
	s_and_saveexec_b64 s[8:9], s[2:3]
	s_cbranch_execz .LBB22_18
.LBB22_22:                              ;   in Loop: Header=BB22_9 Depth=1
	v_sub_f32_e32 v24, v28, v27
	v_fmac_f32_e32 v27, s20, v24
	v_fma_f32 v24, -v19, v24, v28
	v_cndmask_b32_e64 v24, v24, v27, s[0:1]
	v_cvt_f16_f32_e32 v24, v24
	v_mov_b32_e32 v27, s11
	v_add_co_u32_e32 v26, vcc, s10, v15
	v_addc_co_u32_e32 v27, vcc, v16, v27, vcc
	global_store_short v[26:27], v24, off
	s_or_b64 exec, exec, s[8:9]
	s_and_saveexec_b64 s[2:3], s[4:5]
	s_cbranch_execz .LBB22_19
.LBB22_23:                              ;   in Loop: Header=BB22_9 Depth=1
	v_sub_f32_e32 v24, v25, v29
	v_fmac_f32_e32 v29, s20, v24
	v_fma_f32 v24, -v19, v24, v25
	v_cndmask_b32_e64 v24, v24, v29, s[0:1]
	v_cvt_f16_f32_e32 v26, v24
	v_mov_b32_e32 v25, s11
	v_add_co_u32_e32 v24, vcc, s10, v9
	v_addc_co_u32_e32 v25, vcc, v10, v25, vcc
	global_store_short v[24:25], v26, off
	s_or_b64 exec, exec, s[2:3]
	s_and_saveexec_b64 s[2:3], s[6:7]
	s_cbranch_execz .LBB22_8
.LBB22_24:                              ;   in Loop: Header=BB22_9 Depth=1
	v_sub_f32_e32 v24, v30, v31
	v_fmac_f32_e32 v31, s20, v24
	v_fma_f32 v24, -v19, v24, v30
	v_cndmask_b32_e64 v24, v24, v31, s[0:1]
	v_cvt_f16_f32_e32 v26, v24
	v_mov_b32_e32 v25, s11
	v_add_co_u32_e32 v24, vcc, s10, v5
	v_addc_co_u32_e32 v25, vcc, v6, v25, vcc
	global_store_short v[24:25], v26, off
	s_branch .LBB22_8
.LBB22_25:
	s_endpgm
	.section	.rodata,"a",@progbits
	.p2align	6, 0x0
	.amdhsa_kernel _ZN2at6native12_GLOBAL__N_125multi_tensor_apply_kernelINS1_18TensorListMetadataILi2EEENS1_22TernaryOpScalarFunctorIN3c104HalfELi2ELi2ELi0EEEJNS0_11LerpFunctorIfEEfEEEvT_T0_DpT1_
		.amdhsa_group_segment_fixed_size 0
		.amdhsa_private_segment_fixed_size 0
		.amdhsa_kernarg_size 3408
		.amdhsa_user_sgpr_count 6
		.amdhsa_user_sgpr_private_segment_buffer 1
		.amdhsa_user_sgpr_dispatch_ptr 0
		.amdhsa_user_sgpr_queue_ptr 0
		.amdhsa_user_sgpr_kernarg_segment_ptr 1
		.amdhsa_user_sgpr_dispatch_id 0
		.amdhsa_user_sgpr_flat_scratch_init 0
		.amdhsa_user_sgpr_private_segment_size 0
		.amdhsa_uses_dynamic_stack 0
		.amdhsa_system_sgpr_private_segment_wavefront_offset 0
		.amdhsa_system_sgpr_workgroup_id_x 1
		.amdhsa_system_sgpr_workgroup_id_y 0
		.amdhsa_system_sgpr_workgroup_id_z 0
		.amdhsa_system_sgpr_workgroup_info 0
		.amdhsa_system_vgpr_workitem_id 0
		.amdhsa_next_free_vgpr 36
		.amdhsa_next_free_sgpr 23
		.amdhsa_reserve_vcc 1
		.amdhsa_reserve_flat_scratch 0
		.amdhsa_float_round_mode_32 0
		.amdhsa_float_round_mode_16_64 0
		.amdhsa_float_denorm_mode_32 3
		.amdhsa_float_denorm_mode_16_64 3
		.amdhsa_dx10_clamp 1
		.amdhsa_ieee_mode 1
		.amdhsa_fp16_overflow 0
		.amdhsa_exception_fp_ieee_invalid_op 0
		.amdhsa_exception_fp_denorm_src 0
		.amdhsa_exception_fp_ieee_div_zero 0
		.amdhsa_exception_fp_ieee_overflow 0
		.amdhsa_exception_fp_ieee_underflow 0
		.amdhsa_exception_fp_ieee_inexact 0
		.amdhsa_exception_int_div_zero 0
	.end_amdhsa_kernel
	.section	.text._ZN2at6native12_GLOBAL__N_125multi_tensor_apply_kernelINS1_18TensorListMetadataILi2EEENS1_22TernaryOpScalarFunctorIN3c104HalfELi2ELi2ELi0EEEJNS0_11LerpFunctorIfEEfEEEvT_T0_DpT1_,"axG",@progbits,_ZN2at6native12_GLOBAL__N_125multi_tensor_apply_kernelINS1_18TensorListMetadataILi2EEENS1_22TernaryOpScalarFunctorIN3c104HalfELi2ELi2ELi0EEEJNS0_11LerpFunctorIfEEfEEEvT_T0_DpT1_,comdat
.Lfunc_end22:
	.size	_ZN2at6native12_GLOBAL__N_125multi_tensor_apply_kernelINS1_18TensorListMetadataILi2EEENS1_22TernaryOpScalarFunctorIN3c104HalfELi2ELi2ELi0EEEJNS0_11LerpFunctorIfEEfEEEvT_T0_DpT1_, .Lfunc_end22-_ZN2at6native12_GLOBAL__N_125multi_tensor_apply_kernelINS1_18TensorListMetadataILi2EEENS1_22TernaryOpScalarFunctorIN3c104HalfELi2ELi2ELi0EEEJNS0_11LerpFunctorIfEEfEEEvT_T0_DpT1_
                                        ; -- End function
	.set _ZN2at6native12_GLOBAL__N_125multi_tensor_apply_kernelINS1_18TensorListMetadataILi2EEENS1_22TernaryOpScalarFunctorIN3c104HalfELi2ELi2ELi0EEEJNS0_11LerpFunctorIfEEfEEEvT_T0_DpT1_.num_vgpr, 36
	.set _ZN2at6native12_GLOBAL__N_125multi_tensor_apply_kernelINS1_18TensorListMetadataILi2EEENS1_22TernaryOpScalarFunctorIN3c104HalfELi2ELi2ELi0EEEJNS0_11LerpFunctorIfEEfEEEvT_T0_DpT1_.num_agpr, 0
	.set _ZN2at6native12_GLOBAL__N_125multi_tensor_apply_kernelINS1_18TensorListMetadataILi2EEENS1_22TernaryOpScalarFunctorIN3c104HalfELi2ELi2ELi0EEEJNS0_11LerpFunctorIfEEfEEEvT_T0_DpT1_.numbered_sgpr, 23
	.set _ZN2at6native12_GLOBAL__N_125multi_tensor_apply_kernelINS1_18TensorListMetadataILi2EEENS1_22TernaryOpScalarFunctorIN3c104HalfELi2ELi2ELi0EEEJNS0_11LerpFunctorIfEEfEEEvT_T0_DpT1_.num_named_barrier, 0
	.set _ZN2at6native12_GLOBAL__N_125multi_tensor_apply_kernelINS1_18TensorListMetadataILi2EEENS1_22TernaryOpScalarFunctorIN3c104HalfELi2ELi2ELi0EEEJNS0_11LerpFunctorIfEEfEEEvT_T0_DpT1_.private_seg_size, 0
	.set _ZN2at6native12_GLOBAL__N_125multi_tensor_apply_kernelINS1_18TensorListMetadataILi2EEENS1_22TernaryOpScalarFunctorIN3c104HalfELi2ELi2ELi0EEEJNS0_11LerpFunctorIfEEfEEEvT_T0_DpT1_.uses_vcc, 1
	.set _ZN2at6native12_GLOBAL__N_125multi_tensor_apply_kernelINS1_18TensorListMetadataILi2EEENS1_22TernaryOpScalarFunctorIN3c104HalfELi2ELi2ELi0EEEJNS0_11LerpFunctorIfEEfEEEvT_T0_DpT1_.uses_flat_scratch, 0
	.set _ZN2at6native12_GLOBAL__N_125multi_tensor_apply_kernelINS1_18TensorListMetadataILi2EEENS1_22TernaryOpScalarFunctorIN3c104HalfELi2ELi2ELi0EEEJNS0_11LerpFunctorIfEEfEEEvT_T0_DpT1_.has_dyn_sized_stack, 0
	.set _ZN2at6native12_GLOBAL__N_125multi_tensor_apply_kernelINS1_18TensorListMetadataILi2EEENS1_22TernaryOpScalarFunctorIN3c104HalfELi2ELi2ELi0EEEJNS0_11LerpFunctorIfEEfEEEvT_T0_DpT1_.has_recursion, 0
	.set _ZN2at6native12_GLOBAL__N_125multi_tensor_apply_kernelINS1_18TensorListMetadataILi2EEENS1_22TernaryOpScalarFunctorIN3c104HalfELi2ELi2ELi0EEEJNS0_11LerpFunctorIfEEfEEEvT_T0_DpT1_.has_indirect_call, 0
	.section	.AMDGPU.csdata,"",@progbits
; Kernel info:
; codeLenInByte = 1760
; TotalNumSgprs: 27
; NumVgprs: 36
; ScratchSize: 0
; MemoryBound: 0
; FloatMode: 240
; IeeeMode: 1
; LDSByteSize: 0 bytes/workgroup (compile time only)
; SGPRBlocks: 3
; VGPRBlocks: 8
; NumSGPRsForWavesPerEU: 27
; NumVGPRsForWavesPerEU: 36
; Occupancy: 7
; WaveLimiterHint : 0
; COMPUTE_PGM_RSRC2:SCRATCH_EN: 0
; COMPUTE_PGM_RSRC2:USER_SGPR: 6
; COMPUTE_PGM_RSRC2:TRAP_HANDLER: 0
; COMPUTE_PGM_RSRC2:TGID_X_EN: 1
; COMPUTE_PGM_RSRC2:TGID_Y_EN: 0
; COMPUTE_PGM_RSRC2:TGID_Z_EN: 0
; COMPUTE_PGM_RSRC2:TIDIG_COMP_CNT: 0
	.section	.text._ZN2at6native12_GLOBAL__N_125multi_tensor_apply_kernelINS1_18TensorListMetadataILi2EEENS1_22TernaryOpScalarFunctorIN3c108BFloat16ELi2ELi2ELi0EEEJNS0_11LerpFunctorIfEEfEEEvT_T0_DpT1_,"axG",@progbits,_ZN2at6native12_GLOBAL__N_125multi_tensor_apply_kernelINS1_18TensorListMetadataILi2EEENS1_22TernaryOpScalarFunctorIN3c108BFloat16ELi2ELi2ELi0EEEJNS0_11LerpFunctorIfEEfEEEvT_T0_DpT1_,comdat
	.globl	_ZN2at6native12_GLOBAL__N_125multi_tensor_apply_kernelINS1_18TensorListMetadataILi2EEENS1_22TernaryOpScalarFunctorIN3c108BFloat16ELi2ELi2ELi0EEEJNS0_11LerpFunctorIfEEfEEEvT_T0_DpT1_ ; -- Begin function _ZN2at6native12_GLOBAL__N_125multi_tensor_apply_kernelINS1_18TensorListMetadataILi2EEENS1_22TernaryOpScalarFunctorIN3c108BFloat16ELi2ELi2ELi0EEEJNS0_11LerpFunctorIfEEfEEEvT_T0_DpT1_
	.p2align	8
	.type	_ZN2at6native12_GLOBAL__N_125multi_tensor_apply_kernelINS1_18TensorListMetadataILi2EEENS1_22TernaryOpScalarFunctorIN3c108BFloat16ELi2ELi2ELi0EEEJNS0_11LerpFunctorIfEEfEEEvT_T0_DpT1_,@function
_ZN2at6native12_GLOBAL__N_125multi_tensor_apply_kernelINS1_18TensorListMetadataILi2EEENS1_22TernaryOpScalarFunctorIN3c108BFloat16ELi2ELi2ELi0EEEJNS0_11LerpFunctorIfEEfEEEvT_T0_DpT1_: ; @_ZN2at6native12_GLOBAL__N_125multi_tensor_apply_kernelINS1_18TensorListMetadataILi2EEENS1_22TernaryOpScalarFunctorIN3c108BFloat16ELi2ELi2ELi0EEEJNS0_11LerpFunctorIfEEfEEEvT_T0_DpT1_
; %bb.0:
	v_mov_b32_e32 v1, s6
	global_load_ubyte v1, v1, s[4:5] offset:1536
	s_add_u32 s0, s4, s6
	s_mul_hi_u32 s2, s6, 3
	s_mul_i32 s6, s6, 3
	s_addc_u32 s7, s5, 0
	s_add_u32 s6, s0, s6
	s_addc_u32 s7, s7, s2
	s_load_dword s6, s[6:7], 0x740
	s_mov_b32 s1, 0
	s_mov_b32 s3, s1
	s_waitcnt lgkmcnt(0)
	s_ashr_i32 s7, s6, 31
	s_lshl_b64 s[10:11], s[6:7], 17
	s_lshl_b64 s[6:7], s[6:7], 16
	s_waitcnt vmcnt(0)
	v_readfirstlane_b32 s0, v1
	s_lshl_b32 s0, s0, 3
	s_load_dword s22, s[4:5], 0xc4c
	s_load_dwordx2 s[12:13], s[4:5], s0 offset:0x400
	s_load_dwordx2 s[16:17], s[4:5], s0 offset:0x0
	;; [unrolled: 1-line block ×3, first 2 shown]
	s_waitcnt lgkmcnt(0)
	s_add_u32 s0, s16, s10
	s_and_b32 s2, s8, 7
	s_and_b32 s0, s0, 7
	s_sub_u32 s14, s12, s6
	s_subb_u32 s15, s13, s7
	s_and_b32 s6, s12, 3
	s_mov_b32 s7, s1
	s_or_b64 s[2:3], s[2:3], s[6:7]
	s_or_b64 s[0:1], s[2:3], s[0:1]
	s_cmp_eq_u64 s[0:1], 0
	s_mov_b64 s[0:1], -1
	s_cbranch_scc0 .LBB23_5
; %bb.1:
	v_mov_b32_e32 v1, 0x10000
	v_mov_b32_e32 v2, 0
	v_cmp_lt_i64_e32 vcc, s[14:15], v[1:2]
	v_mov_b32_e32 v2, 0
	s_and_b64 s[0:1], vcc, exec
	s_cselect_b32 s13, s15, 0
	s_cselect_b32 s12, s14, 0x10000
	v_lshlrev_b32_e32 v1, 2, v0
	v_cmp_gt_i64_e32 vcc, s[12:13], v[1:2]
	s_and_saveexec_b64 s[18:19], vcc
	s_cbranch_execz .LBB23_4
; %bb.2:
	s_load_dword s0, s[4:5], 0xc5c
	v_mov_b32_e32 v1, v2
	v_lshlrev_b32_e32 v2, 3, v0
	v_mov_b32_e32 v5, s11
	v_cmp_lt_f32_e64 vcc, |s22|, 0.5
	s_waitcnt lgkmcnt(0)
	s_and_b32 s23, s0, 0xffff
	v_add_co_u32_e64 v4, s[0:1], s10, v2
	v_mov_b32_e32 v2, v1
	v_sub_f32_e64 v3, 1.0, s22
	v_addc_co_u32_e64 v5, s[0:1], 0, v5, s[0:1]
	s_lshl_b32 s24, s23, 3
	s_mov_b64 s[20:21], 0
	v_mov_b32_e32 v6, s17
	v_mov_b32_e32 v7, s9
	s_movk_i32 s25, 0x7fff
	v_mov_b32_e32 v8, 0x7fc0
	v_mov_b32_e32 v9, 0x7fc00000
	;; [unrolled: 1-line block ×3, first 2 shown]
.LBB23_3:                               ; =>This Inner Loop Header: Depth=1
	v_add_co_u32_e64 v10, s[0:1], s16, v4
	v_addc_co_u32_e64 v11, s[0:1], v6, v5, s[0:1]
	v_add_co_u32_e64 v12, s[0:1], s8, v4
	v_addc_co_u32_e64 v13, s[0:1], v7, v5, s[0:1]
	global_load_dwordx2 v[14:15], v[10:11], off
	global_load_dwordx2 v[16:17], v[12:13], off
	v_add_co_u32_e64 v1, s[0:1], s23, v1
	v_addc_co_u32_e64 v2, s[0:1], 0, v2, s[0:1]
	v_add_co_u32_e64 v4, s[0:1], s24, v4
	v_lshlrev_b64 v[12:13], 2, v[1:2]
	v_addc_co_u32_e64 v5, s[0:1], 0, v5, s[0:1]
	v_cmp_le_i64_e64 s[0:1], s[12:13], v[12:13]
	s_or_b64 s[20:21], s[0:1], s[20:21]
	s_waitcnt vmcnt(1)
	v_lshlrev_b32_e32 v12, 16, v14
	s_waitcnt vmcnt(0)
	v_lshlrev_b32_e32 v13, 16, v16
	v_and_b32_e32 v18, 0xffff0000, v14
	v_and_b32_e32 v19, 0xffff0000, v16
	v_alignbit_b32 v14, v15, v14, 16
	v_alignbit_b32 v16, v17, v16, 16
	v_and_b32_e32 v15, 0xffff0000, v15
	v_and_b32_e32 v17, 0xffff0000, v17
	v_sub_f32_e32 v20, v13, v12
	v_sub_f32_e32 v21, v19, v18
	v_and_b32_e32 v14, 0xffff0000, v14
	v_and_b32_e32 v16, 0xffff0000, v16
	v_sub_f32_e32 v22, v17, v15
	v_fmac_f32_e32 v12, s22, v20
	v_fma_f32 v13, -v3, v20, v13
	v_fmac_f32_e32 v18, s22, v21
	v_fma_f32 v19, -v3, v21, v19
	v_sub_f32_e32 v20, v16, v14
	v_fmac_f32_e32 v15, s22, v22
	v_fma_f32 v17, -v3, v22, v17
	v_cndmask_b32_e32 v12, v13, v12, vcc
	v_cndmask_b32_e32 v13, v19, v18, vcc
	v_fmac_f32_e32 v14, s22, v20
	v_fma_f32 v16, -v3, v20, v16
	v_cndmask_b32_e32 v15, v17, v15, vcc
	v_bfe_u32 v17, v12, 16, 1
	v_bfe_u32 v18, v13, 16, 1
	v_cndmask_b32_e32 v14, v16, v14, vcc
	v_bfe_u32 v16, v15, 16, 1
	v_add3_u32 v17, v12, v17, s25
	v_add3_u32 v18, v13, v18, s25
	v_bfe_u32 v19, v14, 16, 1
	v_add3_u32 v16, v15, v16, s25
	v_lshrrev_b32_e32 v17, 16, v17
	v_and_b32_e32 v18, 0xffff0000, v18
	v_cmp_o_f32_e64 s[0:1], v13, v13
	v_add3_u32 v13, v14, v19, s25
	v_cmp_o_f32_e64 s[6:7], v12, v12
	v_and_b32_e32 v16, 0xffff0000, v16
	v_cmp_o_f32_e64 s[2:3], v15, v15
	v_cndmask_b32_e64 v12, v8, v17, s[6:7]
	v_cndmask_b32_e64 v15, v9, v18, s[0:1]
	v_lshrrev_b32_e32 v13, 16, v13
	v_cmp_o_f32_e64 s[0:1], v14, v14
	v_cndmask_b32_e64 v14, v9, v16, s[2:3]
	v_or_b32_e32 v12, v12, v15
	v_cndmask_b32_e64 v13, v8, v13, s[0:1]
	v_or3_b32 v13, 0, v13, v14
	v_or3_b32 v12, v12, 0, 0
	global_store_dwordx2 v[10:11], v[12:13], off
	s_andn2_b64 exec, exec, s[20:21]
	s_cbranch_execnz .LBB23_3
.LBB23_4:
	s_or_b64 exec, exec, s[18:19]
	s_mov_b64 s[0:1], 0
.LBB23_5:
	s_andn2_b64 vcc, exec, s[0:1]
	s_cbranch_vccnz .LBB23_25
; %bb.6:
	v_cmp_lt_i64_e64 s[0:1], s[14:15], 1
	s_and_b64 vcc, exec, s[0:1]
	s_cbranch_vccnz .LBB23_25
; %bb.7:
	v_mov_b32_e32 v1, 0x10000
	s_load_dword s2, s[4:5], 0xc5c
	v_mov_b32_e32 v2, 0
	v_cmp_lt_i64_e32 vcc, s[14:15], v[1:2]
	v_mov_b32_e32 v3, 0
	s_and_b64 s[0:1], vcc, exec
	v_cmp_lt_u64_e32 vcc, s[14:15], v[1:2]
	s_cselect_b32 s13, s15, 0
	s_cselect_b32 s12, s14, 0x10000
	s_waitcnt lgkmcnt(0)
	s_and_b32 s4, s2, 0xffff
	v_lshlrev_b32_e32 v2, 1, v0
	s_and_b64 s[0:1], vcc, exec
	v_mov_b32_e32 v1, s17
	v_add_co_u32_e32 v5, vcc, s16, v2
	v_mad_u64_u32 v[3:4], s[2:3], s4, 6, v[2:3]
	v_addc_co_u32_e32 v6, vcc, 0, v1, vcc
	v_mov_b32_e32 v1, s9
	v_add_co_u32_e32 v7, vcc, s8, v2
	v_addc_co_u32_e32 v8, vcc, 0, v1, vcc
	v_mov_b32_e32 v1, s17
	v_add_co_u32_e32 v9, vcc, s16, v3
	;; [unrolled: 3-line block ×3, first 2 shown]
	s_cselect_b32 s15, s15, 0
	s_cselect_b32 s14, s14, 0x10000
	s_lshl_b32 s21, s4, 2
	v_addc_co_u32_e32 v12, vcc, v1, v4, vcc
	v_add_co_u32_e32 v1, vcc, s21, v2
	v_addc_co_u32_e64 v2, s[2:3], 0, 0, vcc
	v_mov_b32_e32 v3, s17
	v_add_co_u32_e32 v13, vcc, s16, v1
	v_addc_co_u32_e32 v14, vcc, v3, v2, vcc
	v_mov_b32_e32 v3, s9
	v_add_co_u32_e32 v15, vcc, s8, v1
	v_addc_co_u32_e32 v16, vcc, v3, v2, vcc
	v_add_co_u32_e32 v17, vcc, s4, v0
	v_lshlrev_b32_e32 v1, 1, v17
	v_addc_co_u32_e64 v18, s[2:3], 0, 0, vcc
	v_mov_b32_e32 v2, s17
	v_add_co_u32_e32 v19, vcc, s16, v1
	v_addc_co_u32_e32 v20, vcc, 0, v2, vcc
	v_mov_b32_e32 v2, s9
	v_add_co_u32_e32 v21, vcc, s8, v1
	s_mul_i32 s6, s4, 3
	v_addc_co_u32_e32 v22, vcc, 0, v2, vcc
	s_lshl_b32 s5, s4, 1
	v_add_co_u32_e32 v24, vcc, s6, v0
	v_addc_co_u32_e64 v25, s[2:3], 0, 0, vcc
	v_add_co_u32_e32 v26, vcc, s5, v0
	s_mov_b32 s20, 0
	v_cmp_lt_f32_e64 s[0:1], |s22|, 0.5
	s_lshl_b32 s23, s4, 3
	s_mov_b64 s[16:17], 0
	s_movk_i32 s24, 0x7fff
	v_sub_f32_e64 v23, 1.0, s22
	v_addc_co_u32_e64 v27, s[2:3], 0, 0, vcc
	v_mov_b32_e32 v28, 0x7fc0
	s_branch .LBB23_9
.LBB23_8:                               ;   in Loop: Header=BB23_9 Depth=1
	s_or_b64 exec, exec, s[2:3]
	v_add_co_u32_e32 v5, vcc, s23, v5
	v_addc_co_u32_e32 v6, vcc, 0, v6, vcc
	v_add_co_u32_e32 v7, vcc, s23, v7
	v_addc_co_u32_e32 v8, vcc, 0, v8, vcc
	;; [unrolled: 2-line block ×6, first 2 shown]
	s_add_u32 s16, s16, s21
	v_add_co_u32_e32 v19, vcc, s23, v19
	v_mov_b32_e32 v1, s12
	s_addc_u32 s17, s17, 0
	v_addc_co_u32_e32 v20, vcc, 0, v20, vcc
	v_mov_b32_e32 v2, s13
	v_cmp_ge_i64_e32 vcc, s[16:17], v[1:2]
	v_add_co_u32_e64 v21, s[2:3], s23, v21
	v_addc_co_u32_e64 v22, s[2:3], 0, v22, s[2:3]
	s_cbranch_vccnz .LBB23_25
.LBB23_9:                               ; =>This Inner Loop Header: Depth=1
	v_mov_b32_e32 v2, s17
	v_add_co_u32_e32 v1, vcc, s16, v0
	v_addc_co_u32_e32 v2, vcc, 0, v2, vcc
	v_cmp_gt_u64_e32 vcc, s[14:15], v[1:2]
	v_mov_b32_e32 v1, 0
	v_mov_b32_e32 v3, 0
	;; [unrolled: 1-line block ×4, first 2 shown]
	s_and_saveexec_b64 s[4:5], vcc
	s_cbranch_execz .LBB23_11
; %bb.10:                               ;   in Loop: Header=BB23_9 Depth=1
	v_mov_b32_e32 v4, s11
	v_add_co_u32_e64 v1, s[2:3], s10, v7
	v_addc_co_u32_e64 v2, s[2:3], v8, v4, s[2:3]
	v_add_co_u32_e64 v3, s[2:3], s10, v5
	v_addc_co_u32_e64 v4, s[2:3], v6, v4, s[2:3]
	global_load_ushort v29, v[3:4], off
	global_load_ushort v30, v[1:2], off
	v_mov_b32_e32 v4, s20
	v_mov_b32_e32 v2, s20
	s_waitcnt vmcnt(1)
	v_and_b32_e32 v3, 0xffff, v29
	s_waitcnt vmcnt(0)
	v_and_b32_e32 v1, 0xffff, v30
.LBB23_11:                              ;   in Loop: Header=BB23_9 Depth=1
	s_or_b64 exec, exec, s[4:5]
	v_mov_b32_e32 v30, s17
	v_add_co_u32_e64 v29, s[2:3], s16, v17
	v_addc_co_u32_e64 v30, s[2:3], v18, v30, s[2:3]
	v_cmp_gt_u64_e64 s[2:3], s[14:15], v[29:30]
	s_and_saveexec_b64 s[6:7], s[2:3]
	s_cbranch_execz .LBB23_13
; %bb.12:                               ;   in Loop: Header=BB23_9 Depth=1
	v_mov_b32_e32 v31, s11
	v_add_co_u32_e64 v29, s[4:5], s10, v19
	v_addc_co_u32_e64 v30, s[4:5], v20, v31, s[4:5]
	global_load_ushort v32, v[29:30], off
	v_add_co_u32_e64 v29, s[4:5], s10, v21
	v_addc_co_u32_e64 v30, s[4:5], v22, v31, s[4:5]
	global_load_ushort v29, v[29:30], off
	s_waitcnt vmcnt(1)
	v_lshl_or_b32 v3, v32, 16, v3
	s_waitcnt vmcnt(0)
	v_lshl_or_b32 v1, v29, 16, v1
.LBB23_13:                              ;   in Loop: Header=BB23_9 Depth=1
	s_or_b64 exec, exec, s[6:7]
	v_mov_b32_e32 v30, s17
	v_add_co_u32_e64 v29, s[4:5], s16, v26
	v_addc_co_u32_e64 v30, s[4:5], v27, v30, s[4:5]
	v_cmp_gt_u64_e64 s[4:5], s[14:15], v[29:30]
	v_cmp_le_u64_e64 s[6:7], s[14:15], v[29:30]
	s_and_saveexec_b64 s[8:9], s[6:7]
	s_xor_b64 s[6:7], exec, s[8:9]
	s_andn2_saveexec_b64 s[8:9], s[6:7]
	s_cbranch_execz .LBB23_15
; %bb.14:                               ;   in Loop: Header=BB23_9 Depth=1
	v_mov_b32_e32 v31, s11
	v_add_co_u32_e64 v29, s[6:7], s10, v13
	v_addc_co_u32_e64 v30, s[6:7], v14, v31, s[6:7]
	global_load_ushort v32, v[29:30], off
	v_add_co_u32_e64 v29, s[6:7], s10, v15
	v_addc_co_u32_e64 v30, s[6:7], v16, v31, s[6:7]
	global_load_ushort v29, v[29:30], off
	s_waitcnt vmcnt(1)
	v_or_b32_e32 v4, v32, v4
	s_waitcnt vmcnt(0)
	v_or_b32_e32 v2, v29, v2
.LBB23_15:                              ;   in Loop: Header=BB23_9 Depth=1
	s_or_b64 exec, exec, s[8:9]
	v_mov_b32_e32 v30, s17
	v_add_co_u32_e64 v29, s[6:7], s16, v24
	v_addc_co_u32_e64 v30, s[6:7], v25, v30, s[6:7]
	v_cmp_gt_u64_e64 s[6:7], s[14:15], v[29:30]
	s_and_saveexec_b64 s[18:19], s[6:7]
	s_cbranch_execnz .LBB23_20
; %bb.16:                               ;   in Loop: Header=BB23_9 Depth=1
	s_or_b64 exec, exec, s[18:19]
	s_and_saveexec_b64 s[8:9], vcc
	s_cbranch_execnz .LBB23_21
.LBB23_17:                              ;   in Loop: Header=BB23_9 Depth=1
	s_or_b64 exec, exec, s[8:9]
	s_and_saveexec_b64 s[8:9], s[2:3]
	s_cbranch_execnz .LBB23_22
.LBB23_18:                              ;   in Loop: Header=BB23_9 Depth=1
	s_or_b64 exec, exec, s[8:9]
	s_and_saveexec_b64 s[2:3], s[4:5]
	s_cbranch_execnz .LBB23_23
.LBB23_19:                              ;   in Loop: Header=BB23_9 Depth=1
	s_or_b64 exec, exec, s[2:3]
	s_and_saveexec_b64 s[2:3], s[6:7]
	s_cbranch_execz .LBB23_8
	s_branch .LBB23_24
.LBB23_20:                              ;   in Loop: Header=BB23_9 Depth=1
	v_mov_b32_e32 v31, s11
	v_add_co_u32_e64 v29, s[8:9], s10, v9
	v_addc_co_u32_e64 v30, s[8:9], v10, v31, s[8:9]
	global_load_ushort v32, v[29:30], off
	v_add_co_u32_e64 v29, s[8:9], s10, v11
	v_addc_co_u32_e64 v30, s[8:9], v12, v31, s[8:9]
	global_load_ushort v29, v[29:30], off
	v_add_co_u32_e64 v1, s[8:9], 0, v1
	s_waitcnt vmcnt(1)
	v_lshlrev_b32_e32 v30, 16, v32
	v_or_b32_e32 v4, v30, v4
	s_waitcnt vmcnt(0)
	v_lshlrev_b32_e32 v29, 16, v29
	v_addc_co_u32_e64 v2, s[8:9], v29, v2, s[8:9]
	s_or_b64 exec, exec, s[18:19]
	s_and_saveexec_b64 s[8:9], vcc
	s_cbranch_execz .LBB23_17
.LBB23_21:                              ;   in Loop: Header=BB23_9 Depth=1
	v_lshlrev_b32_e32 v29, 16, v1
	v_lshlrev_b32_e32 v30, 16, v3
	v_sub_f32_e32 v31, v29, v30
	v_fmac_f32_e32 v30, s22, v31
	v_fma_f32 v29, -v23, v31, v29
	v_cndmask_b32_e64 v31, v29, v30, s[0:1]
	v_bfe_u32 v29, v31, 16, 1
	v_add3_u32 v32, v31, v29, s24
	v_mov_b32_e32 v30, s11
	v_add_co_u32_e32 v29, vcc, s10, v5
	v_addc_co_u32_e32 v30, vcc, v6, v30, vcc
	v_cmp_o_f32_e32 vcc, v31, v31
	v_cndmask_b32_sdwa v31, v28, v32, vcc dst_sel:DWORD dst_unused:UNUSED_PAD src0_sel:DWORD src1_sel:WORD_1
	global_store_short v[29:30], v31, off
	s_or_b64 exec, exec, s[8:9]
	s_and_saveexec_b64 s[8:9], s[2:3]
	s_cbranch_execz .LBB23_18
.LBB23_22:                              ;   in Loop: Header=BB23_9 Depth=1
	v_and_b32_e32 v29, 0xffff0000, v3
	v_and_b32_e32 v30, 0xffff0000, v1
	v_sub_f32_e32 v31, v30, v29
	v_fmac_f32_e32 v29, s22, v31
	v_fma_f32 v30, -v23, v31, v30
	v_cndmask_b32_e64 v29, v30, v29, s[0:1]
	v_bfe_u32 v30, v29, 16, 1
	v_add3_u32 v30, v29, v30, s24
	v_cmp_o_f32_e32 vcc, v29, v29
	v_cndmask_b32_sdwa v31, v28, v30, vcc dst_sel:DWORD dst_unused:UNUSED_PAD src0_sel:DWORD src1_sel:WORD_1
	v_mov_b32_e32 v30, s11
	v_add_co_u32_e32 v29, vcc, s10, v19
	v_addc_co_u32_e32 v30, vcc, v20, v30, vcc
	global_store_short v[29:30], v31, off
	s_or_b64 exec, exec, s[8:9]
	s_and_saveexec_b64 s[2:3], s[4:5]
	s_cbranch_execz .LBB23_19
.LBB23_23:                              ;   in Loop: Header=BB23_9 Depth=1
	v_alignbit_b32 v3, v4, v3, 16
	v_alignbit_b32 v1, v2, v1, 16
	v_and_b32_e32 v3, 0xffff0000, v3
	v_and_b32_e32 v1, 0xffff0000, v1
	v_sub_f32_e32 v29, v1, v3
	v_fmac_f32_e32 v3, s22, v29
	v_fma_f32 v1, -v23, v29, v1
	v_cndmask_b32_e64 v1, v1, v3, s[0:1]
	v_bfe_u32 v3, v1, 16, 1
	v_add3_u32 v3, v1, v3, s24
	v_cmp_o_f32_e32 vcc, v1, v1
	v_cndmask_b32_sdwa v1, v28, v3, vcc dst_sel:DWORD dst_unused:UNUSED_PAD src0_sel:DWORD src1_sel:WORD_1
	v_mov_b32_e32 v3, s11
	v_add_co_u32_e32 v29, vcc, s10, v13
	v_addc_co_u32_e32 v30, vcc, v14, v3, vcc
	global_store_short v[29:30], v1, off
	s_or_b64 exec, exec, s[2:3]
	s_and_saveexec_b64 s[2:3], s[6:7]
	s_cbranch_execz .LBB23_8
.LBB23_24:                              ;   in Loop: Header=BB23_9 Depth=1
	v_and_b32_e32 v1, 0xffff0000, v4
	v_and_b32_e32 v2, 0xffff0000, v2
	v_sub_f32_e32 v3, v2, v1
	v_fmac_f32_e32 v1, s22, v3
	v_fma_f32 v2, -v23, v3, v2
	v_cndmask_b32_e64 v1, v2, v1, s[0:1]
	v_bfe_u32 v2, v1, 16, 1
	v_add3_u32 v2, v1, v2, s24
	v_cmp_o_f32_e32 vcc, v1, v1
	v_cndmask_b32_sdwa v3, v28, v2, vcc dst_sel:DWORD dst_unused:UNUSED_PAD src0_sel:DWORD src1_sel:WORD_1
	v_mov_b32_e32 v2, s11
	v_add_co_u32_e32 v1, vcc, s10, v9
	v_addc_co_u32_e32 v2, vcc, v10, v2, vcc
	global_store_short v[1:2], v3, off
	s_branch .LBB23_8
.LBB23_25:
	s_endpgm
	.section	.rodata,"a",@progbits
	.p2align	6, 0x0
	.amdhsa_kernel _ZN2at6native12_GLOBAL__N_125multi_tensor_apply_kernelINS1_18TensorListMetadataILi2EEENS1_22TernaryOpScalarFunctorIN3c108BFloat16ELi2ELi2ELi0EEEJNS0_11LerpFunctorIfEEfEEEvT_T0_DpT1_
		.amdhsa_group_segment_fixed_size 0
		.amdhsa_private_segment_fixed_size 0
		.amdhsa_kernarg_size 3408
		.amdhsa_user_sgpr_count 6
		.amdhsa_user_sgpr_private_segment_buffer 1
		.amdhsa_user_sgpr_dispatch_ptr 0
		.amdhsa_user_sgpr_queue_ptr 0
		.amdhsa_user_sgpr_kernarg_segment_ptr 1
		.amdhsa_user_sgpr_dispatch_id 0
		.amdhsa_user_sgpr_flat_scratch_init 0
		.amdhsa_user_sgpr_private_segment_size 0
		.amdhsa_uses_dynamic_stack 0
		.amdhsa_system_sgpr_private_segment_wavefront_offset 0
		.amdhsa_system_sgpr_workgroup_id_x 1
		.amdhsa_system_sgpr_workgroup_id_y 0
		.amdhsa_system_sgpr_workgroup_id_z 0
		.amdhsa_system_sgpr_workgroup_info 0
		.amdhsa_system_vgpr_workitem_id 0
		.amdhsa_next_free_vgpr 33
		.amdhsa_next_free_sgpr 26
		.amdhsa_reserve_vcc 1
		.amdhsa_reserve_flat_scratch 0
		.amdhsa_float_round_mode_32 0
		.amdhsa_float_round_mode_16_64 0
		.amdhsa_float_denorm_mode_32 3
		.amdhsa_float_denorm_mode_16_64 3
		.amdhsa_dx10_clamp 1
		.amdhsa_ieee_mode 1
		.amdhsa_fp16_overflow 0
		.amdhsa_exception_fp_ieee_invalid_op 0
		.amdhsa_exception_fp_denorm_src 0
		.amdhsa_exception_fp_ieee_div_zero 0
		.amdhsa_exception_fp_ieee_overflow 0
		.amdhsa_exception_fp_ieee_underflow 0
		.amdhsa_exception_fp_ieee_inexact 0
		.amdhsa_exception_int_div_zero 0
	.end_amdhsa_kernel
	.section	.text._ZN2at6native12_GLOBAL__N_125multi_tensor_apply_kernelINS1_18TensorListMetadataILi2EEENS1_22TernaryOpScalarFunctorIN3c108BFloat16ELi2ELi2ELi0EEEJNS0_11LerpFunctorIfEEfEEEvT_T0_DpT1_,"axG",@progbits,_ZN2at6native12_GLOBAL__N_125multi_tensor_apply_kernelINS1_18TensorListMetadataILi2EEENS1_22TernaryOpScalarFunctorIN3c108BFloat16ELi2ELi2ELi0EEEJNS0_11LerpFunctorIfEEfEEEvT_T0_DpT1_,comdat
.Lfunc_end23:
	.size	_ZN2at6native12_GLOBAL__N_125multi_tensor_apply_kernelINS1_18TensorListMetadataILi2EEENS1_22TernaryOpScalarFunctorIN3c108BFloat16ELi2ELi2ELi0EEEJNS0_11LerpFunctorIfEEfEEEvT_T0_DpT1_, .Lfunc_end23-_ZN2at6native12_GLOBAL__N_125multi_tensor_apply_kernelINS1_18TensorListMetadataILi2EEENS1_22TernaryOpScalarFunctorIN3c108BFloat16ELi2ELi2ELi0EEEJNS0_11LerpFunctorIfEEfEEEvT_T0_DpT1_
                                        ; -- End function
	.set _ZN2at6native12_GLOBAL__N_125multi_tensor_apply_kernelINS1_18TensorListMetadataILi2EEENS1_22TernaryOpScalarFunctorIN3c108BFloat16ELi2ELi2ELi0EEEJNS0_11LerpFunctorIfEEfEEEvT_T0_DpT1_.num_vgpr, 33
	.set _ZN2at6native12_GLOBAL__N_125multi_tensor_apply_kernelINS1_18TensorListMetadataILi2EEENS1_22TernaryOpScalarFunctorIN3c108BFloat16ELi2ELi2ELi0EEEJNS0_11LerpFunctorIfEEfEEEvT_T0_DpT1_.num_agpr, 0
	.set _ZN2at6native12_GLOBAL__N_125multi_tensor_apply_kernelINS1_18TensorListMetadataILi2EEENS1_22TernaryOpScalarFunctorIN3c108BFloat16ELi2ELi2ELi0EEEJNS0_11LerpFunctorIfEEfEEEvT_T0_DpT1_.numbered_sgpr, 26
	.set _ZN2at6native12_GLOBAL__N_125multi_tensor_apply_kernelINS1_18TensorListMetadataILi2EEENS1_22TernaryOpScalarFunctorIN3c108BFloat16ELi2ELi2ELi0EEEJNS0_11LerpFunctorIfEEfEEEvT_T0_DpT1_.num_named_barrier, 0
	.set _ZN2at6native12_GLOBAL__N_125multi_tensor_apply_kernelINS1_18TensorListMetadataILi2EEENS1_22TernaryOpScalarFunctorIN3c108BFloat16ELi2ELi2ELi0EEEJNS0_11LerpFunctorIfEEfEEEvT_T0_DpT1_.private_seg_size, 0
	.set _ZN2at6native12_GLOBAL__N_125multi_tensor_apply_kernelINS1_18TensorListMetadataILi2EEENS1_22TernaryOpScalarFunctorIN3c108BFloat16ELi2ELi2ELi0EEEJNS0_11LerpFunctorIfEEfEEEvT_T0_DpT1_.uses_vcc, 1
	.set _ZN2at6native12_GLOBAL__N_125multi_tensor_apply_kernelINS1_18TensorListMetadataILi2EEENS1_22TernaryOpScalarFunctorIN3c108BFloat16ELi2ELi2ELi0EEEJNS0_11LerpFunctorIfEEfEEEvT_T0_DpT1_.uses_flat_scratch, 0
	.set _ZN2at6native12_GLOBAL__N_125multi_tensor_apply_kernelINS1_18TensorListMetadataILi2EEENS1_22TernaryOpScalarFunctorIN3c108BFloat16ELi2ELi2ELi0EEEJNS0_11LerpFunctorIfEEfEEEvT_T0_DpT1_.has_dyn_sized_stack, 0
	.set _ZN2at6native12_GLOBAL__N_125multi_tensor_apply_kernelINS1_18TensorListMetadataILi2EEENS1_22TernaryOpScalarFunctorIN3c108BFloat16ELi2ELi2ELi0EEEJNS0_11LerpFunctorIfEEfEEEvT_T0_DpT1_.has_recursion, 0
	.set _ZN2at6native12_GLOBAL__N_125multi_tensor_apply_kernelINS1_18TensorListMetadataILi2EEENS1_22TernaryOpScalarFunctorIN3c108BFloat16ELi2ELi2ELi0EEEJNS0_11LerpFunctorIfEEfEEEvT_T0_DpT1_.has_indirect_call, 0
	.section	.AMDGPU.csdata,"",@progbits
; Kernel info:
; codeLenInByte = 2156
; TotalNumSgprs: 30
; NumVgprs: 33
; ScratchSize: 0
; MemoryBound: 0
; FloatMode: 240
; IeeeMode: 1
; LDSByteSize: 0 bytes/workgroup (compile time only)
; SGPRBlocks: 3
; VGPRBlocks: 8
; NumSGPRsForWavesPerEU: 30
; NumVGPRsForWavesPerEU: 33
; Occupancy: 7
; WaveLimiterHint : 0
; COMPUTE_PGM_RSRC2:SCRATCH_EN: 0
; COMPUTE_PGM_RSRC2:USER_SGPR: 6
; COMPUTE_PGM_RSRC2:TRAP_HANDLER: 0
; COMPUTE_PGM_RSRC2:TGID_X_EN: 1
; COMPUTE_PGM_RSRC2:TGID_Y_EN: 0
; COMPUTE_PGM_RSRC2:TGID_Z_EN: 0
; COMPUTE_PGM_RSRC2:TIDIG_COMP_CNT: 0
	.section	.text._ZN2at6native12_GLOBAL__N_125multi_tensor_apply_kernelINS1_28TensorListScalarListMetadataIdLi3EEENS1_26TernaryOpScalarListFunctorIdLi3ELi2ELi2EEEJNS0_11LerpFunctorIdEEEEEvT_T0_DpT1_,"axG",@progbits,_ZN2at6native12_GLOBAL__N_125multi_tensor_apply_kernelINS1_28TensorListScalarListMetadataIdLi3EEENS1_26TernaryOpScalarListFunctorIdLi3ELi2ELi2EEEJNS0_11LerpFunctorIdEEEEEvT_T0_DpT1_,comdat
	.globl	_ZN2at6native12_GLOBAL__N_125multi_tensor_apply_kernelINS1_28TensorListScalarListMetadataIdLi3EEENS1_26TernaryOpScalarListFunctorIdLi3ELi2ELi2EEEJNS0_11LerpFunctorIdEEEEEvT_T0_DpT1_ ; -- Begin function _ZN2at6native12_GLOBAL__N_125multi_tensor_apply_kernelINS1_28TensorListScalarListMetadataIdLi3EEENS1_26TernaryOpScalarListFunctorIdLi3ELi2ELi2EEEJNS0_11LerpFunctorIdEEEEEvT_T0_DpT1_
	.p2align	8
	.type	_ZN2at6native12_GLOBAL__N_125multi_tensor_apply_kernelINS1_28TensorListScalarListMetadataIdLi3EEENS1_26TernaryOpScalarListFunctorIdLi3ELi2ELi2EEEJNS0_11LerpFunctorIdEEEEEvT_T0_DpT1_,@function
_ZN2at6native12_GLOBAL__N_125multi_tensor_apply_kernelINS1_28TensorListScalarListMetadataIdLi3EEENS1_26TernaryOpScalarListFunctorIdLi3ELi2ELi2EEEJNS0_11LerpFunctorIdEEEEEvT_T0_DpT1_: ; @_ZN2at6native12_GLOBAL__N_125multi_tensor_apply_kernelINS1_28TensorListScalarListMetadataIdLi3EEENS1_26TernaryOpScalarListFunctorIdLi3ELi2ELi2EEEJNS0_11LerpFunctorIdEEEEEvT_T0_DpT1_
; %bb.0:
	v_mov_b32_e32 v1, s6
	global_load_ubyte v1, v1, s[4:5] offset:1920
	s_add_u32 s0, s4, s6
	s_mul_hi_u32 s3, s6, 3
	s_mul_i32 s6, s6, 3
	s_addc_u32 s7, s5, 0
	s_add_u32 s2, s0, s6
	s_addc_u32 s3, s7, s3
	s_load_dword s2, s[2:3], 0x8c0
	s_mov_b32 s1, 0
	s_mov_b32 s15, s1
	s_waitcnt lgkmcnt(0)
	s_ashr_i32 s3, s2, 31
	s_lshl_b64 s[12:13], s[2:3], 19
	s_waitcnt vmcnt(0)
	v_readfirstlane_b32 s0, v1
	s_lshl_b32 s0, s0, 3
	s_load_dwordx2 s[10:11], s[4:5], s0 offset:0x600
	s_load_dwordx2 s[18:19], s[4:5], s0 offset:0x0
	;; [unrolled: 1-line block ×5, first 2 shown]
	s_waitcnt lgkmcnt(0)
	s_add_u32 s24, s18, s12
	s_addc_u32 s25, s19, s13
	s_and_b32 s0, s24, 31
	s_add_u32 s26, s8, s12
	s_addc_u32 s27, s9, s13
	s_add_u32 s28, s6, s12
	s_addc_u32 s29, s7, s13
	s_or_b32 s14, s28, s26
	s_and_b32 s14, s14, 31
	s_cmp_lg_u32 s14, 0
	s_cselect_b64 s[22:23], -1, 0
	s_lshl_b64 s[2:3], s[2:3], 16
	s_sub_u32 s16, s20, s2
	s_subb_u32 s17, s21, s3
	s_and_b32 s14, s20, 3
	s_or_b64 s[0:1], s[0:1], s[14:15]
	s_cmp_lg_u64 s[0:1], 0
	s_cselect_b64 s[0:1], -1, 0
	s_or_b64 s[0:1], s[22:23], s[0:1]
	s_andn2_b64 vcc, exec, s[0:1]
	s_mov_b64 s[0:1], -1
	s_cbranch_vccz .LBB24_5
; %bb.1:
	v_mov_b32_e32 v1, 0x10000
	v_mov_b32_e32 v2, 0
	v_cmp_lt_i64_e32 vcc, s[16:17], v[1:2]
	v_mov_b32_e32 v4, 0
	s_and_b64 s[0:1], vcc, exec
	s_cselect_b32 s15, s17, 0
	s_cselect_b32 s14, s16, 0x10000
	v_lshlrev_b32_e32 v3, 2, v0
	v_cmp_gt_i64_e32 vcc, s[14:15], v[3:4]
	s_and_saveexec_b64 s[20:21], vcc
	s_cbranch_execz .LBB24_4
; %bb.2:
	v_cmp_lt_f64_e64 vcc, |s[10:11]|, 0.5
	v_add_f64 v[2:3], -s[10:11], 1.0
	s_load_dword s0, s[4:5], 0xdd4
	v_mov_b32_e32 v1, v4
	v_mov_b32_e32 v5, v1
	v_lshlrev_b32_e32 v6, 5, v0
	s_mov_b64 s[22:23], 0
	s_waitcnt lgkmcnt(0)
	s_and_b32 s30, s0, 0xffff
	s_lshl_b32 s31, s30, 5
	v_mov_b32_e32 v4, v0
.LBB24_3:                               ; =>This Inner Loop Header: Depth=1
	v_mov_b32_e32 v7, s27
	v_add_co_u32_e64 v23, s[0:1], s26, v6
	v_mov_b32_e32 v1, s25
	v_add_co_u32_e64 v25, s[2:3], s24, v6
	v_addc_co_u32_e64 v24, s[0:1], 0, v7, s[0:1]
	v_addc_co_u32_e64 v26, s[2:3], 0, v1, s[2:3]
	global_load_dwordx4 v[7:10], v[23:24], off
	global_load_dwordx4 v[11:14], v[25:26], off
	global_load_dwordx4 v[15:18], v[25:26], off offset:16
	global_load_dwordx4 v[19:22], v[23:24], off offset:16
	v_add_co_u32_e64 v4, s[2:3], s30, v4
	v_addc_co_u32_e64 v5, s[2:3], 0, v5, s[2:3]
	v_mov_b32_e32 v1, s29
	v_add_co_u32_e64 v23, s[0:1], s28, v6
	v_lshlrev_b64 v[25:26], 2, v[4:5]
	v_addc_co_u32_e64 v24, s[0:1], 0, v1, s[0:1]
	v_cmp_le_i64_e64 s[0:1], s[14:15], v[25:26]
	s_add_u32 s28, s28, s31
	s_addc_u32 s29, s29, 0
	s_add_u32 s24, s24, s31
	s_addc_u32 s25, s25, 0
	;; [unrolled: 2-line block ×3, first 2 shown]
	s_or_b64 s[22:23], s[0:1], s[22:23]
	s_waitcnt vmcnt(2)
	v_add_f64 v[25:26], v[7:8], -v[11:12]
	v_add_f64 v[27:28], v[9:10], -v[13:14]
	s_waitcnt vmcnt(0)
	v_add_f64 v[29:30], v[19:20], -v[15:16]
	v_add_f64 v[31:32], v[21:22], -v[17:18]
	v_fma_f64 v[11:12], s[10:11], v[25:26], v[11:12]
	v_fma_f64 v[7:8], -v[2:3], v[25:26], v[7:8]
	v_fma_f64 v[13:14], s[10:11], v[27:28], v[13:14]
	v_fma_f64 v[9:10], -v[2:3], v[27:28], v[9:10]
	;; [unrolled: 2-line block ×4, first 2 shown]
	v_cndmask_b32_e32 v8, v8, v12, vcc
	v_cndmask_b32_e32 v7, v7, v11, vcc
	;; [unrolled: 1-line block ×8, first 2 shown]
	global_store_dwordx4 v[23:24], v[7:10], off
	global_store_dwordx4 v[23:24], v[11:14], off offset:16
	s_andn2_b64 exec, exec, s[22:23]
	s_cbranch_execnz .LBB24_3
.LBB24_4:
	s_or_b64 exec, exec, s[20:21]
	s_mov_b64 s[0:1], 0
.LBB24_5:
	s_andn2_b64 vcc, exec, s[0:1]
	s_cbranch_vccnz .LBB24_25
; %bb.6:
	v_cmp_lt_i64_e64 s[0:1], s[16:17], 1
	s_and_b64 vcc, exec, s[0:1]
	s_cbranch_vccnz .LBB24_25
; %bb.7:
	v_mov_b32_e32 v1, 0x10000
	s_load_dword s2, s[4:5], 0xdd4
	v_mov_b32_e32 v2, 0
	v_cmp_lt_i64_e32 vcc, s[16:17], v[1:2]
	v_mov_b32_e32 v3, 0
	s_and_b64 s[0:1], vcc, exec
	s_cselect_b32 s15, s17, 0
	s_cselect_b32 s14, s16, 0x10000
	v_cmp_lt_u64_e32 vcc, s[16:17], v[1:2]
	s_waitcnt lgkmcnt(0)
	s_and_b32 s2, s2, 0xffff
	v_lshlrev_b32_e32 v2, 3, v0
	v_mad_u64_u32 v[3:4], s[0:1], s2, 24, v[2:3]
	s_and_b64 s[0:1], vcc, exec
	v_mov_b32_e32 v7, s19
	v_add_co_u32_e32 v19, vcc, s18, v3
	v_addc_co_u32_e32 v20, vcc, v7, v4, vcc
	v_mov_b32_e32 v7, s9
	v_add_co_u32_e32 v21, vcc, s8, v3
	v_addc_co_u32_e32 v22, vcc, v7, v4, vcc
	v_mov_b32_e32 v7, s7
	v_add_co_u32_e32 v23, vcc, s6, v3
	s_cselect_b32 s17, s17, 0
	s_cselect_b32 s16, s16, 0x10000
	v_addc_co_u32_e32 v24, vcc, v7, v4, vcc
	s_lshl_b32 s0, s2, 4
	v_add_co_u32_e32 v3, vcc, s0, v2
	v_addc_co_u32_e64 v4, s[0:1], 0, 0, vcc
	v_mov_b32_e32 v7, s19
	v_add_co_u32_e32 v25, vcc, s18, v3
	v_addc_co_u32_e32 v26, vcc, v7, v4, vcc
	v_mov_b32_e32 v7, s9
	v_add_co_u32_e32 v27, vcc, s8, v3
	v_addc_co_u32_e32 v28, vcc, v7, v4, vcc
	;; [unrolled: 3-line block ×6, first 2 shown]
	v_add_co_u32_e32 v37, vcc, s2, v0
	v_lshlrev_b32_e32 v1, 3, v37
	s_lshl_b32 s4, s2, 1
	s_mul_i32 s5, s2, 3
	s_lshl_b32 s22, s2, 2
	s_lshl_b32 s23, s2, 5
	v_addc_co_u32_e64 v38, s[2:3], 0, 0, vcc
	v_mov_b32_e32 v2, s19
	v_add_co_u32_e32 v39, vcc, s18, v1
	v_addc_co_u32_e32 v40, vcc, 0, v2, vcc
	v_mov_b32_e32 v2, s9
	v_add_co_u32_e32 v41, vcc, s8, v1
	v_addc_co_u32_e32 v42, vcc, 0, v2, vcc
	v_mov_b32_e32 v2, s7
	v_add_co_u32_e32 v43, vcc, s6, v1
	v_cmp_lt_f64_e64 s[0:1], |s[10:11]|, 0.5
	v_addc_co_u32_e32 v44, vcc, 0, v2, vcc
	v_add_f64 v[1:2], -s[10:11], 1.0
	v_add_co_u32_e32 v45, vcc, s5, v0
	v_addc_co_u32_e64 v46, s[2:3], 0, 0, vcc
	v_add_co_u32_e32 v47, vcc, s4, v0
	s_mov_b64 s[18:19], 0
	v_addc_co_u32_e64 v48, s[2:3], 0, 0, vcc
	s_branch .LBB24_9
.LBB24_8:                               ;   in Loop: Header=BB24_9 Depth=1
	s_or_b64 exec, exec, s[2:3]
	v_add_co_u32_e32 v31, vcc, s23, v31
	v_addc_co_u32_e32 v32, vcc, 0, v32, vcc
	v_add_co_u32_e32 v33, vcc, s23, v33
	v_addc_co_u32_e32 v34, vcc, 0, v34, vcc
	;; [unrolled: 2-line block ×10, first 2 shown]
	s_add_u32 s18, s18, s22
	v_add_co_u32_e32 v41, vcc, s23, v41
	s_waitcnt vmcnt(0)
	v_mov_b32_e32 v3, s14
	s_addc_u32 s19, s19, 0
	v_addc_co_u32_e32 v42, vcc, 0, v42, vcc
	v_mov_b32_e32 v4, s15
	v_cmp_ge_i64_e32 vcc, s[18:19], v[3:4]
	v_add_co_u32_e64 v43, s[2:3], s23, v43
	v_addc_co_u32_e64 v44, s[2:3], 0, v44, s[2:3]
	s_cbranch_vccnz .LBB24_25
.LBB24_9:                               ; =>This Inner Loop Header: Depth=1
	v_mov_b32_e32 v4, s19
	v_add_co_u32_e32 v3, vcc, s18, v0
	v_addc_co_u32_e32 v4, vcc, 0, v4, vcc
	v_cmp_gt_u64_e32 vcc, s[16:17], v[3:4]
	v_mov_b32_e32 v3, 0
	v_mov_b32_e32 v7, 0
	;; [unrolled: 1-line block ×6, first 2 shown]
	s_and_saveexec_b64 s[4:5], vcc
	s_cbranch_execz .LBB24_11
; %bb.10:                               ;   in Loop: Header=BB24_9 Depth=1
	v_mov_b32_e32 v7, s13
	v_add_co_u32_e64 v5, s[2:3], s12, v33
	v_addc_co_u32_e64 v6, s[2:3], v34, v7, s[2:3]
	v_add_co_u32_e64 v11, s[2:3], s12, v31
	v_addc_co_u32_e64 v12, s[2:3], v32, v7, s[2:3]
	global_load_dwordx2 v[9:10], v[11:12], off
	global_load_dwordx2 v[7:8], v[5:6], off
.LBB24_11:                              ;   in Loop: Header=BB24_9 Depth=1
	s_or_b64 exec, exec, s[4:5]
	v_mov_b32_e32 v6, s19
	v_add_co_u32_e64 v5, s[2:3], s18, v37
	v_addc_co_u32_e64 v6, s[2:3], v38, v6, s[2:3]
	v_cmp_gt_u64_e64 s[2:3], s[16:17], v[5:6]
	v_mov_b32_e32 v11, 0
	v_mov_b32_e32 v12, 0
	s_and_saveexec_b64 s[6:7], s[2:3]
	s_cbranch_execz .LBB24_13
; %bb.12:                               ;   in Loop: Header=BB24_9 Depth=1
	v_mov_b32_e32 v3, s13
	v_add_co_u32_e64 v5, s[4:5], s12, v41
	v_addc_co_u32_e64 v6, s[4:5], v42, v3, s[4:5]
	v_add_co_u32_e64 v13, s[4:5], s12, v39
	v_addc_co_u32_e64 v14, s[4:5], v40, v3, s[4:5]
	global_load_dwordx2 v[11:12], v[13:14], off
	global_load_dwordx2 v[3:4], v[5:6], off
.LBB24_13:                              ;   in Loop: Header=BB24_9 Depth=1
	s_or_b64 exec, exec, s[6:7]
	v_mov_b32_e32 v6, s19
	v_add_co_u32_e64 v5, s[4:5], s18, v47
	v_addc_co_u32_e64 v6, s[4:5], v48, v6, s[4:5]
	v_cmp_gt_u64_e64 s[4:5], s[16:17], v[5:6]
	v_mov_b32_e32 v5, 0
	v_mov_b32_e32 v13, 0
	;; [unrolled: 1-line block ×6, first 2 shown]
	s_and_saveexec_b64 s[8:9], s[4:5]
	s_cbranch_execz .LBB24_15
; %bb.14:                               ;   in Loop: Header=BB24_9 Depth=1
	v_mov_b32_e32 v13, s13
	v_add_co_u32_e64 v17, s[6:7], s12, v27
	v_addc_co_u32_e64 v18, s[6:7], v28, v13, s[6:7]
	v_add_co_u32_e64 v49, s[6:7], s12, v25
	v_addc_co_u32_e64 v50, s[6:7], v26, v13, s[6:7]
	global_load_dwordx2 v[15:16], v[49:50], off
	global_load_dwordx2 v[13:14], v[17:18], off
.LBB24_15:                              ;   in Loop: Header=BB24_9 Depth=1
	s_or_b64 exec, exec, s[8:9]
	v_mov_b32_e32 v18, s19
	v_add_co_u32_e64 v17, s[6:7], s18, v45
	v_addc_co_u32_e64 v18, s[6:7], v46, v18, s[6:7]
	v_cmp_gt_u64_e64 s[6:7], s[16:17], v[17:18]
	v_mov_b32_e32 v17, 0
	v_mov_b32_e32 v18, 0
	s_and_saveexec_b64 s[20:21], s[6:7]
	s_cbranch_execnz .LBB24_20
; %bb.16:                               ;   in Loop: Header=BB24_9 Depth=1
	s_or_b64 exec, exec, s[20:21]
	s_and_saveexec_b64 s[8:9], vcc
	s_cbranch_execnz .LBB24_21
.LBB24_17:                              ;   in Loop: Header=BB24_9 Depth=1
	s_or_b64 exec, exec, s[8:9]
	s_and_saveexec_b64 s[8:9], s[2:3]
	s_cbranch_execnz .LBB24_22
.LBB24_18:                              ;   in Loop: Header=BB24_9 Depth=1
	s_or_b64 exec, exec, s[8:9]
	s_and_saveexec_b64 s[2:3], s[4:5]
	s_cbranch_execnz .LBB24_23
.LBB24_19:                              ;   in Loop: Header=BB24_9 Depth=1
	s_or_b64 exec, exec, s[2:3]
	s_and_saveexec_b64 s[2:3], s[6:7]
	s_cbranch_execz .LBB24_8
	s_branch .LBB24_24
.LBB24_20:                              ;   in Loop: Header=BB24_9 Depth=1
	v_mov_b32_e32 v5, s13
	v_add_co_u32_e64 v49, s[8:9], s12, v21
	v_addc_co_u32_e64 v50, s[8:9], v22, v5, s[8:9]
	v_add_co_u32_e64 v51, s[8:9], s12, v19
	v_addc_co_u32_e64 v52, s[8:9], v20, v5, s[8:9]
	global_load_dwordx2 v[17:18], v[51:52], off
	global_load_dwordx2 v[5:6], v[49:50], off
	s_or_b64 exec, exec, s[20:21]
	s_and_saveexec_b64 s[8:9], vcc
	s_cbranch_execz .LBB24_17
.LBB24_21:                              ;   in Loop: Header=BB24_9 Depth=1
	s_waitcnt vmcnt(0)
	v_add_f64 v[49:50], v[7:8], -v[9:10]
	v_fma_f64 v[9:10], s[10:11], v[49:50], v[9:10]
	v_fma_f64 v[7:8], -v[1:2], v[49:50], v[7:8]
	v_mov_b32_e32 v49, s13
	v_cndmask_b32_e64 v7, v7, v9, s[0:1]
	v_add_co_u32_e32 v9, vcc, s12, v35
	v_cndmask_b32_e64 v8, v8, v10, s[0:1]
	v_addc_co_u32_e32 v10, vcc, v36, v49, vcc
	global_store_dwordx2 v[9:10], v[7:8], off
	s_or_b64 exec, exec, s[8:9]
	s_and_saveexec_b64 s[8:9], s[2:3]
	s_cbranch_execz .LBB24_18
.LBB24_22:                              ;   in Loop: Header=BB24_9 Depth=1
	s_waitcnt vmcnt(0)
	v_add_f64 v[7:8], v[3:4], -v[11:12]
	v_fma_f64 v[9:10], s[10:11], v[7:8], v[11:12]
	v_fma_f64 v[3:4], -v[1:2], v[7:8], v[3:4]
	v_mov_b32_e32 v8, s13
	v_add_co_u32_e32 v7, vcc, s12, v43
	v_addc_co_u32_e32 v8, vcc, v44, v8, vcc
	v_cndmask_b32_e64 v4, v4, v10, s[0:1]
	v_cndmask_b32_e64 v3, v3, v9, s[0:1]
	global_store_dwordx2 v[7:8], v[3:4], off
	s_or_b64 exec, exec, s[8:9]
	s_and_saveexec_b64 s[2:3], s[4:5]
	s_cbranch_execz .LBB24_19
.LBB24_23:                              ;   in Loop: Header=BB24_9 Depth=1
	s_waitcnt vmcnt(0)
	v_add_f64 v[3:4], v[13:14], -v[15:16]
	v_mov_b32_e32 v9, s13
	v_fma_f64 v[7:8], s[10:11], v[3:4], v[15:16]
	v_fma_f64 v[3:4], -v[1:2], v[3:4], v[13:14]
	v_cndmask_b32_e64 v3, v3, v7, s[0:1]
	v_add_co_u32_e32 v7, vcc, s12, v29
	v_cndmask_b32_e64 v4, v4, v8, s[0:1]
	v_addc_co_u32_e32 v8, vcc, v30, v9, vcc
	global_store_dwordx2 v[7:8], v[3:4], off
	s_or_b64 exec, exec, s[2:3]
	s_and_saveexec_b64 s[2:3], s[6:7]
	s_cbranch_execz .LBB24_8
.LBB24_24:                              ;   in Loop: Header=BB24_9 Depth=1
	s_waitcnt vmcnt(0)
	v_add_f64 v[3:4], v[5:6], -v[17:18]
	v_fma_f64 v[7:8], s[10:11], v[3:4], v[17:18]
	v_fma_f64 v[3:4], -v[1:2], v[3:4], v[5:6]
	v_mov_b32_e32 v6, s13
	v_add_co_u32_e32 v5, vcc, s12, v23
	v_addc_co_u32_e32 v6, vcc, v24, v6, vcc
	v_cndmask_b32_e64 v4, v4, v8, s[0:1]
	v_cndmask_b32_e64 v3, v3, v7, s[0:1]
	global_store_dwordx2 v[5:6], v[3:4], off
	s_branch .LBB24_8
.LBB24_25:
	s_endpgm
	.section	.rodata,"a",@progbits
	.p2align	6, 0x0
	.amdhsa_kernel _ZN2at6native12_GLOBAL__N_125multi_tensor_apply_kernelINS1_28TensorListScalarListMetadataIdLi3EEENS1_26TernaryOpScalarListFunctorIdLi3ELi2ELi2EEEJNS0_11LerpFunctorIdEEEEEvT_T0_DpT1_
		.amdhsa_group_segment_fixed_size 0
		.amdhsa_private_segment_fixed_size 0
		.amdhsa_kernarg_size 3784
		.amdhsa_user_sgpr_count 6
		.amdhsa_user_sgpr_private_segment_buffer 1
		.amdhsa_user_sgpr_dispatch_ptr 0
		.amdhsa_user_sgpr_queue_ptr 0
		.amdhsa_user_sgpr_kernarg_segment_ptr 1
		.amdhsa_user_sgpr_dispatch_id 0
		.amdhsa_user_sgpr_flat_scratch_init 0
		.amdhsa_user_sgpr_private_segment_size 0
		.amdhsa_uses_dynamic_stack 0
		.amdhsa_system_sgpr_private_segment_wavefront_offset 0
		.amdhsa_system_sgpr_workgroup_id_x 1
		.amdhsa_system_sgpr_workgroup_id_y 0
		.amdhsa_system_sgpr_workgroup_id_z 0
		.amdhsa_system_sgpr_workgroup_info 0
		.amdhsa_system_vgpr_workitem_id 0
		.amdhsa_next_free_vgpr 53
		.amdhsa_next_free_sgpr 32
		.amdhsa_reserve_vcc 1
		.amdhsa_reserve_flat_scratch 0
		.amdhsa_float_round_mode_32 0
		.amdhsa_float_round_mode_16_64 0
		.amdhsa_float_denorm_mode_32 3
		.amdhsa_float_denorm_mode_16_64 3
		.amdhsa_dx10_clamp 1
		.amdhsa_ieee_mode 1
		.amdhsa_fp16_overflow 0
		.amdhsa_exception_fp_ieee_invalid_op 0
		.amdhsa_exception_fp_denorm_src 0
		.amdhsa_exception_fp_ieee_div_zero 0
		.amdhsa_exception_fp_ieee_overflow 0
		.amdhsa_exception_fp_ieee_underflow 0
		.amdhsa_exception_fp_ieee_inexact 0
		.amdhsa_exception_int_div_zero 0
	.end_amdhsa_kernel
	.section	.text._ZN2at6native12_GLOBAL__N_125multi_tensor_apply_kernelINS1_28TensorListScalarListMetadataIdLi3EEENS1_26TernaryOpScalarListFunctorIdLi3ELi2ELi2EEEJNS0_11LerpFunctorIdEEEEEvT_T0_DpT1_,"axG",@progbits,_ZN2at6native12_GLOBAL__N_125multi_tensor_apply_kernelINS1_28TensorListScalarListMetadataIdLi3EEENS1_26TernaryOpScalarListFunctorIdLi3ELi2ELi2EEEJNS0_11LerpFunctorIdEEEEEvT_T0_DpT1_,comdat
.Lfunc_end24:
	.size	_ZN2at6native12_GLOBAL__N_125multi_tensor_apply_kernelINS1_28TensorListScalarListMetadataIdLi3EEENS1_26TernaryOpScalarListFunctorIdLi3ELi2ELi2EEEJNS0_11LerpFunctorIdEEEEEvT_T0_DpT1_, .Lfunc_end24-_ZN2at6native12_GLOBAL__N_125multi_tensor_apply_kernelINS1_28TensorListScalarListMetadataIdLi3EEENS1_26TernaryOpScalarListFunctorIdLi3ELi2ELi2EEEJNS0_11LerpFunctorIdEEEEEvT_T0_DpT1_
                                        ; -- End function
	.set _ZN2at6native12_GLOBAL__N_125multi_tensor_apply_kernelINS1_28TensorListScalarListMetadataIdLi3EEENS1_26TernaryOpScalarListFunctorIdLi3ELi2ELi2EEEJNS0_11LerpFunctorIdEEEEEvT_T0_DpT1_.num_vgpr, 53
	.set _ZN2at6native12_GLOBAL__N_125multi_tensor_apply_kernelINS1_28TensorListScalarListMetadataIdLi3EEENS1_26TernaryOpScalarListFunctorIdLi3ELi2ELi2EEEJNS0_11LerpFunctorIdEEEEEvT_T0_DpT1_.num_agpr, 0
	.set _ZN2at6native12_GLOBAL__N_125multi_tensor_apply_kernelINS1_28TensorListScalarListMetadataIdLi3EEENS1_26TernaryOpScalarListFunctorIdLi3ELi2ELi2EEEJNS0_11LerpFunctorIdEEEEEvT_T0_DpT1_.numbered_sgpr, 32
	.set _ZN2at6native12_GLOBAL__N_125multi_tensor_apply_kernelINS1_28TensorListScalarListMetadataIdLi3EEENS1_26TernaryOpScalarListFunctorIdLi3ELi2ELi2EEEJNS0_11LerpFunctorIdEEEEEvT_T0_DpT1_.num_named_barrier, 0
	.set _ZN2at6native12_GLOBAL__N_125multi_tensor_apply_kernelINS1_28TensorListScalarListMetadataIdLi3EEENS1_26TernaryOpScalarListFunctorIdLi3ELi2ELi2EEEJNS0_11LerpFunctorIdEEEEEvT_T0_DpT1_.private_seg_size, 0
	.set _ZN2at6native12_GLOBAL__N_125multi_tensor_apply_kernelINS1_28TensorListScalarListMetadataIdLi3EEENS1_26TernaryOpScalarListFunctorIdLi3ELi2ELi2EEEJNS0_11LerpFunctorIdEEEEEvT_T0_DpT1_.uses_vcc, 1
	.set _ZN2at6native12_GLOBAL__N_125multi_tensor_apply_kernelINS1_28TensorListScalarListMetadataIdLi3EEENS1_26TernaryOpScalarListFunctorIdLi3ELi2ELi2EEEJNS0_11LerpFunctorIdEEEEEvT_T0_DpT1_.uses_flat_scratch, 0
	.set _ZN2at6native12_GLOBAL__N_125multi_tensor_apply_kernelINS1_28TensorListScalarListMetadataIdLi3EEENS1_26TernaryOpScalarListFunctorIdLi3ELi2ELi2EEEJNS0_11LerpFunctorIdEEEEEvT_T0_DpT1_.has_dyn_sized_stack, 0
	.set _ZN2at6native12_GLOBAL__N_125multi_tensor_apply_kernelINS1_28TensorListScalarListMetadataIdLi3EEENS1_26TernaryOpScalarListFunctorIdLi3ELi2ELi2EEEJNS0_11LerpFunctorIdEEEEEvT_T0_DpT1_.has_recursion, 0
	.set _ZN2at6native12_GLOBAL__N_125multi_tensor_apply_kernelINS1_28TensorListScalarListMetadataIdLi3EEENS1_26TernaryOpScalarListFunctorIdLi3ELi2ELi2EEEJNS0_11LerpFunctorIdEEEEEvT_T0_DpT1_.has_indirect_call, 0
	.section	.AMDGPU.csdata,"",@progbits
; Kernel info:
; codeLenInByte = 1908
; TotalNumSgprs: 36
; NumVgprs: 53
; ScratchSize: 0
; MemoryBound: 0
; FloatMode: 240
; IeeeMode: 1
; LDSByteSize: 0 bytes/workgroup (compile time only)
; SGPRBlocks: 4
; VGPRBlocks: 13
; NumSGPRsForWavesPerEU: 36
; NumVGPRsForWavesPerEU: 53
; Occupancy: 4
; WaveLimiterHint : 1
; COMPUTE_PGM_RSRC2:SCRATCH_EN: 0
; COMPUTE_PGM_RSRC2:USER_SGPR: 6
; COMPUTE_PGM_RSRC2:TRAP_HANDLER: 0
; COMPUTE_PGM_RSRC2:TGID_X_EN: 1
; COMPUTE_PGM_RSRC2:TGID_Y_EN: 0
; COMPUTE_PGM_RSRC2:TGID_Z_EN: 0
; COMPUTE_PGM_RSRC2:TIDIG_COMP_CNT: 0
	.section	.text._ZN2at6native12_GLOBAL__N_125multi_tensor_apply_kernelINS1_28TensorListScalarListMetadataIfLi3EEENS1_26TernaryOpScalarListFunctorIfLi3ELi2ELi2EEEJNS0_11LerpFunctorIfEEEEEvT_T0_DpT1_,"axG",@progbits,_ZN2at6native12_GLOBAL__N_125multi_tensor_apply_kernelINS1_28TensorListScalarListMetadataIfLi3EEENS1_26TernaryOpScalarListFunctorIfLi3ELi2ELi2EEEJNS0_11LerpFunctorIfEEEEEvT_T0_DpT1_,comdat
	.globl	_ZN2at6native12_GLOBAL__N_125multi_tensor_apply_kernelINS1_28TensorListScalarListMetadataIfLi3EEENS1_26TernaryOpScalarListFunctorIfLi3ELi2ELi2EEEJNS0_11LerpFunctorIfEEEEEvT_T0_DpT1_ ; -- Begin function _ZN2at6native12_GLOBAL__N_125multi_tensor_apply_kernelINS1_28TensorListScalarListMetadataIfLi3EEENS1_26TernaryOpScalarListFunctorIfLi3ELi2ELi2EEEJNS0_11LerpFunctorIfEEEEEvT_T0_DpT1_
	.p2align	8
	.type	_ZN2at6native12_GLOBAL__N_125multi_tensor_apply_kernelINS1_28TensorListScalarListMetadataIfLi3EEENS1_26TernaryOpScalarListFunctorIfLi3ELi2ELi2EEEJNS0_11LerpFunctorIfEEEEEvT_T0_DpT1_,@function
_ZN2at6native12_GLOBAL__N_125multi_tensor_apply_kernelINS1_28TensorListScalarListMetadataIfLi3EEENS1_26TernaryOpScalarListFunctorIfLi3ELi2ELi2EEEJNS0_11LerpFunctorIfEEEEEvT_T0_DpT1_: ; @_ZN2at6native12_GLOBAL__N_125multi_tensor_apply_kernelINS1_28TensorListScalarListMetadataIfLi3EEENS1_26TernaryOpScalarListFunctorIfLi3ELi2ELi2EEEJNS0_11LerpFunctorIfEEEEEvT_T0_DpT1_
; %bb.0:
	v_mov_b32_e32 v1, s6
	global_load_ubyte v1, v1, s[4:5] offset:1728
	s_add_u32 s0, s4, s6
	s_mul_i32 s1, s6, 3
	s_addc_u32 s2, s5, 0
	s_mul_hi_u32 s3, s6, 3
	s_add_u32 s0, s0, s1
	s_addc_u32 s1, s2, s3
	s_load_dword s0, s[0:1], 0x800
	s_mov_b32 s3, 0
	s_mov_b32 s13, s3
	v_mov_b32_e32 v2, 0
	s_waitcnt lgkmcnt(0)
	s_ashr_i32 s1, s0, 31
	s_waitcnt vmcnt(0)
	v_readfirstlane_b32 s2, v1
	v_lshlrev_b32_e32 v1, 2, v1
	v_sub_co_u32_e32 v1, vcc, 0, v1
	s_lshl_b32 s2, s2, 3
	v_subb_co_u32_e64 v3, s[6:7], 0, 0, vcc
	s_load_dwordx2 s[18:19], s[4:5], s2 offset:0x480
	s_load_dwordx2 s[16:17], s[4:5], s2 offset:0x0
	;; [unrolled: 1-line block ×4, first 2 shown]
	s_add_u32 s12, s4, s2
	s_addc_u32 s2, s5, 0
	s_lshl_b64 s[10:11], s[0:1], 18
	s_waitcnt lgkmcnt(0)
	s_add_u32 s23, s16, s10
	v_mov_b32_e32 v4, s2
	s_addc_u32 s24, s17, s11
	s_and_b32 s2, s23, 15
	s_add_u32 s25, s8, s10
	s_addc_u32 s26, s9, s11
	s_add_u32 s27, s6, s10
	v_add_co_u32_e32 v1, vcc, s12, v1
	s_addc_u32 s28, s7, s11
	s_or_b32 s12, s27, s25
	s_and_b32 s12, s12, 15
	v_addc_co_u32_e32 v3, vcc, v4, v3, vcc
	s_cmp_lg_u32 s12, 0
	v_readfirstlane_b32 s14, v1
	v_readfirstlane_b32 s15, v3
	s_cselect_b64 s[20:21], -1, 0
	s_lshl_b64 s[0:1], s[0:1], 16
	s_load_dword s22, s[14:15], 0x600
	s_sub_u32 s14, s18, s0
	s_subb_u32 s15, s19, s1
	s_and_b32 s12, s18, 3
	s_or_b64 s[0:1], s[2:3], s[12:13]
	s_cmp_lg_u64 s[0:1], 0
	s_cselect_b64 s[0:1], -1, 0
	s_or_b64 s[0:1], s[20:21], s[0:1]
	s_andn2_b64 vcc, exec, s[0:1]
	s_mov_b64 s[0:1], -1
	s_cbranch_vccz .LBB25_5
; %bb.1:
	v_mov_b32_e32 v3, 0x10000
	v_mov_b32_e32 v4, 0
	v_cmp_lt_i64_e32 vcc, s[14:15], v[3:4]
	v_lshlrev_b32_e32 v1, 2, v0
	s_and_b64 s[0:1], vcc, exec
	s_cselect_b32 s13, s15, 0
	s_cselect_b32 s12, s14, 0x10000
	v_cmp_gt_i64_e32 vcc, s[12:13], v[1:2]
	s_and_saveexec_b64 s[18:19], vcc
	s_cbranch_execz .LBB25_4
; %bb.2:
	s_load_dword s0, s[4:5], 0xd14
	v_mov_b32_e32 v1, v2
	v_mov_b32_e32 v2, v1
	s_waitcnt lgkmcnt(0)
	v_cmp_lt_f32_e64 vcc, |s22|, 0.5
	v_sub_f32_e64 v3, 1.0, s22
	s_and_b32 s29, s0, 0xffff
	v_lshlrev_b32_e32 v4, 4, v0
	s_lshl_b32 s30, s29, 4
	s_mov_b64 s[20:21], 0
	v_mov_b32_e32 v1, v0
.LBB25_3:                               ; =>This Inner Loop Header: Depth=1
	v_mov_b32_e32 v5, s24
	v_add_co_u32_e64 v15, s[2:3], s23, v4
	v_mov_b32_e32 v6, s26
	v_add_co_u32_e64 v13, s[0:1], s25, v4
	v_addc_co_u32_e64 v16, s[2:3], 0, v5, s[2:3]
	v_addc_co_u32_e64 v14, s[0:1], 0, v6, s[0:1]
	global_load_dwordx4 v[5:8], v[15:16], off
	global_load_dwordx4 v[9:12], v[13:14], off
	v_add_co_u32_e64 v13, s[0:1], s27, v4
	v_add_co_u32_e64 v1, s[2:3], s29, v1
	s_add_u32 s27, s27, s30
	v_mov_b32_e32 v14, s28
	v_addc_co_u32_e64 v2, s[2:3], 0, v2, s[2:3]
	s_addc_u32 s28, s28, 0
	v_lshlrev_b64 v[15:16], 2, v[1:2]
	s_add_u32 s23, s23, s30
	v_addc_co_u32_e64 v14, s[0:1], 0, v14, s[0:1]
	s_addc_u32 s24, s24, 0
	v_cmp_le_i64_e64 s[0:1], s[12:13], v[15:16]
	s_add_u32 s25, s25, s30
	s_addc_u32 s26, s26, 0
	s_or_b64 s[20:21], s[0:1], s[20:21]
	s_waitcnt vmcnt(0)
	v_sub_f32_e32 v15, v9, v5
	v_sub_f32_e32 v16, v10, v6
	;; [unrolled: 1-line block ×4, first 2 shown]
	v_fma_f32 v5, s22, v15, v5
	v_fma_f32 v9, -v3, v15, v9
	v_fma_f32 v6, s22, v16, v6
	v_fma_f32 v10, -v3, v16, v10
	;; [unrolled: 2-line block ×3, first 2 shown]
	v_fmac_f32_e32 v8, s22, v18
	v_fma_f32 v12, -v3, v18, v12
	v_cndmask_b32_e32 v5, v9, v5, vcc
	v_cndmask_b32_e32 v6, v10, v6, vcc
	;; [unrolled: 1-line block ×4, first 2 shown]
	global_store_dwordx4 v[13:14], v[5:8], off
	s_andn2_b64 exec, exec, s[20:21]
	s_cbranch_execnz .LBB25_3
.LBB25_4:
	s_or_b64 exec, exec, s[18:19]
	s_mov_b64 s[0:1], 0
.LBB25_5:
	s_andn2_b64 vcc, exec, s[0:1]
	s_cbranch_vccnz .LBB25_25
; %bb.6:
	v_cmp_lt_i64_e64 s[0:1], s[14:15], 1
	s_and_b64 vcc, exec, s[0:1]
	s_cbranch_vccnz .LBB25_25
; %bb.7:
	v_mov_b32_e32 v1, 0x10000
	s_load_dword s2, s[4:5], 0xd14
	v_mov_b32_e32 v2, 0
	v_cmp_lt_i64_e32 vcc, s[14:15], v[1:2]
	v_mov_b32_e32 v18, 0
	s_and_b64 s[0:1], vcc, exec
	s_cselect_b32 s13, s15, 0
	s_cselect_b32 s12, s14, 0x10000
	s_waitcnt lgkmcnt(0)
	s_and_b32 s2, s2, 0xffff
	v_lshlrev_b32_e32 v17, 2, v0
	v_mad_u64_u32 v[5:6], s[0:1], s2, 12, v[17:18]
	v_cmp_lt_u64_e32 vcc, s[14:15], v[1:2]
	v_mov_b32_e32 v2, s17
	s_and_b64 s[0:1], vcc, exec
	v_add_co_u32_e32 v1, vcc, s16, v5
	v_addc_co_u32_e32 v2, vcc, v2, v6, vcc
	v_mov_b32_e32 v4, s9
	v_add_co_u32_e32 v3, vcc, s8, v5
	v_addc_co_u32_e32 v4, vcc, v4, v6, vcc
	v_mov_b32_e32 v7, s7
	v_add_co_u32_e32 v5, vcc, s6, v5
	s_cselect_b32 s15, s15, 0
	s_cselect_b32 s14, s14, 0x10000
	v_addc_co_u32_e32 v6, vcc, v7, v6, vcc
	s_lshl_b32 s0, s2, 3
	v_add_co_u32_e32 v11, vcc, s0, v17
	v_addc_co_u32_e64 v12, s[0:1], 0, 0, vcc
	v_mov_b32_e32 v8, s17
	v_add_co_u32_e32 v7, vcc, s16, v11
	v_addc_co_u32_e32 v8, vcc, v8, v12, vcc
	v_mov_b32_e32 v10, s9
	v_add_co_u32_e32 v9, vcc, s8, v11
	v_addc_co_u32_e32 v10, vcc, v10, v12, vcc
	;; [unrolled: 3-line block ×6, first 2 shown]
	v_add_co_u32_e32 v19, vcc, s2, v0
	v_lshlrev_b32_e32 v25, 2, v19
	s_lshl_b32 s4, s2, 1
	s_mul_i32 s5, s2, 3
	s_lshl_b32 s20, s2, 2
	s_lshl_b32 s21, s2, 4
	v_addc_co_u32_e64 v20, s[2:3], 0, 0, vcc
	v_mov_b32_e32 v22, s17
	v_add_co_u32_e32 v21, vcc, s16, v25
	v_addc_co_u32_e32 v22, vcc, 0, v22, vcc
	v_mov_b32_e32 v24, s9
	v_add_co_u32_e32 v23, vcc, s8, v25
	v_addc_co_u32_e32 v24, vcc, 0, v24, vcc
	;; [unrolled: 3-line block ×3, first 2 shown]
	v_add_co_u32_e32 v28, vcc, s5, v0
	v_addc_co_u32_e64 v29, s[2:3], 0, 0, vcc
	v_add_co_u32_e32 v30, vcc, s4, v0
	v_cmp_lt_f32_e64 s[0:1], |s22|, 0.5
	s_mov_b64 s[16:17], 0
	v_sub_f32_e64 v27, 1.0, s22
	v_addc_co_u32_e64 v31, s[2:3], 0, 0, vcc
	s_branch .LBB25_9
.LBB25_8:                               ;   in Loop: Header=BB25_9 Depth=1
	s_or_b64 exec, exec, s[2:3]
	v_add_co_u32_e32 v13, vcc, s21, v13
	v_addc_co_u32_e32 v14, vcc, 0, v14, vcc
	v_add_co_u32_e32 v15, vcc, s21, v15
	v_addc_co_u32_e32 v16, vcc, 0, v16, vcc
	;; [unrolled: 2-line block ×10, first 2 shown]
	s_add_u32 s16, s16, s20
	v_add_co_u32_e32 v23, vcc, s21, v23
	s_waitcnt vmcnt(0)
	v_mov_b32_e32 v33, s13
	s_addc_u32 s17, s17, 0
	v_addc_co_u32_e32 v24, vcc, 0, v24, vcc
	v_mov_b32_e32 v32, s12
	v_cmp_ge_i64_e32 vcc, s[16:17], v[32:33]
	v_add_co_u32_e64 v25, s[2:3], s21, v25
	v_addc_co_u32_e64 v26, s[2:3], 0, v26, s[2:3]
	s_cbranch_vccnz .LBB25_25
.LBB25_9:                               ; =>This Inner Loop Header: Depth=1
	v_mov_b32_e32 v33, s17
	v_add_co_u32_e32 v32, vcc, s16, v0
	v_addc_co_u32_e32 v33, vcc, 0, v33, vcc
	v_cmp_gt_u64_e32 vcc, s[14:15], v[32:33]
	v_mov_b32_e32 v33, 0
	v_mov_b32_e32 v32, 0
	s_and_saveexec_b64 s[4:5], vcc
	s_cbranch_execz .LBB25_11
; %bb.10:                               ;   in Loop: Header=BB25_9 Depth=1
	v_mov_b32_e32 v32, s11
	v_add_co_u32_e64 v34, s[2:3], s10, v15
	v_addc_co_u32_e64 v35, s[2:3], v16, v32, s[2:3]
	v_add_co_u32_e64 v36, s[2:3], s10, v13
	v_addc_co_u32_e64 v37, s[2:3], v14, v32, s[2:3]
	global_load_dword v32, v[36:37], off
	global_load_dword v33, v[34:35], off
.LBB25_11:                              ;   in Loop: Header=BB25_9 Depth=1
	s_or_b64 exec, exec, s[4:5]
	v_mov_b32_e32 v35, s17
	v_add_co_u32_e64 v34, s[2:3], s16, v19
	v_addc_co_u32_e64 v35, s[2:3], v20, v35, s[2:3]
	v_cmp_gt_u64_e64 s[2:3], s[14:15], v[34:35]
	v_mov_b32_e32 v34, 0
	v_mov_b32_e32 v36, 0
	;; [unrolled: 1-line block ×3, first 2 shown]
	s_and_saveexec_b64 s[6:7], s[2:3]
	s_cbranch_execz .LBB25_13
; %bb.12:                               ;   in Loop: Header=BB25_9 Depth=1
	v_mov_b32_e32 v35, s11
	v_add_co_u32_e64 v37, s[4:5], s10, v23
	v_addc_co_u32_e64 v38, s[4:5], v24, v35, s[4:5]
	v_add_co_u32_e64 v39, s[4:5], s10, v21
	v_addc_co_u32_e64 v40, s[4:5], v22, v35, s[4:5]
	global_load_dword v35, v[39:40], off
	global_load_dword v36, v[37:38], off
.LBB25_13:                              ;   in Loop: Header=BB25_9 Depth=1
	s_or_b64 exec, exec, s[6:7]
	v_mov_b32_e32 v38, s17
	v_add_co_u32_e64 v37, s[4:5], s16, v30
	v_addc_co_u32_e64 v38, s[4:5], v31, v38, s[4:5]
	v_cmp_gt_u64_e64 s[4:5], s[14:15], v[37:38]
	v_mov_b32_e32 v37, 0
	s_and_saveexec_b64 s[8:9], s[4:5]
	s_cbranch_execz .LBB25_15
; %bb.14:                               ;   in Loop: Header=BB25_9 Depth=1
	v_mov_b32_e32 v34, s11
	v_add_co_u32_e64 v38, s[6:7], s10, v9
	v_addc_co_u32_e64 v39, s[6:7], v10, v34, s[6:7]
	v_add_co_u32_e64 v40, s[6:7], s10, v7
	v_addc_co_u32_e64 v41, s[6:7], v8, v34, s[6:7]
	global_load_dword v37, v[40:41], off
	global_load_dword v34, v[38:39], off
.LBB25_15:                              ;   in Loop: Header=BB25_9 Depth=1
	s_or_b64 exec, exec, s[8:9]
	v_mov_b32_e32 v39, s17
	v_add_co_u32_e64 v38, s[6:7], s16, v28
	v_addc_co_u32_e64 v39, s[6:7], v29, v39, s[6:7]
	v_cmp_gt_u64_e64 s[6:7], s[14:15], v[38:39]
	v_mov_b32_e32 v38, 0
	v_mov_b32_e32 v39, 0
	s_and_saveexec_b64 s[18:19], s[6:7]
	s_cbranch_execnz .LBB25_20
; %bb.16:                               ;   in Loop: Header=BB25_9 Depth=1
	s_or_b64 exec, exec, s[18:19]
	s_and_saveexec_b64 s[8:9], vcc
	s_cbranch_execnz .LBB25_21
.LBB25_17:                              ;   in Loop: Header=BB25_9 Depth=1
	s_or_b64 exec, exec, s[8:9]
	s_and_saveexec_b64 s[8:9], s[2:3]
	s_cbranch_execnz .LBB25_22
.LBB25_18:                              ;   in Loop: Header=BB25_9 Depth=1
	s_or_b64 exec, exec, s[8:9]
	s_and_saveexec_b64 s[2:3], s[4:5]
	s_cbranch_execnz .LBB25_23
.LBB25_19:                              ;   in Loop: Header=BB25_9 Depth=1
	s_or_b64 exec, exec, s[2:3]
	s_and_saveexec_b64 s[2:3], s[6:7]
	s_cbranch_execz .LBB25_8
	s_branch .LBB25_24
.LBB25_20:                              ;   in Loop: Header=BB25_9 Depth=1
	v_mov_b32_e32 v38, s11
	v_add_co_u32_e64 v40, s[8:9], s10, v3
	v_addc_co_u32_e64 v41, s[8:9], v4, v38, s[8:9]
	v_add_co_u32_e64 v42, s[8:9], s10, v1
	v_addc_co_u32_e64 v43, s[8:9], v2, v38, s[8:9]
	global_load_dword v39, v[42:43], off
	global_load_dword v38, v[40:41], off
	s_or_b64 exec, exec, s[18:19]
	s_and_saveexec_b64 s[8:9], vcc
	s_cbranch_execz .LBB25_17
.LBB25_21:                              ;   in Loop: Header=BB25_9 Depth=1
	s_waitcnt vmcnt(0)
	v_sub_f32_e32 v42, v33, v32
	v_mov_b32_e32 v41, s11
	v_add_co_u32_e32 v40, vcc, s10, v17
	v_fmac_f32_e32 v32, s22, v42
	v_fma_f32 v33, -v27, v42, v33
	v_addc_co_u32_e32 v41, vcc, v18, v41, vcc
	v_cndmask_b32_e64 v32, v33, v32, s[0:1]
	global_store_dword v[40:41], v32, off
	s_or_b64 exec, exec, s[8:9]
	s_and_saveexec_b64 s[8:9], s[2:3]
	s_cbranch_execz .LBB25_18
.LBB25_22:                              ;   in Loop: Header=BB25_9 Depth=1
	s_waitcnt vmcnt(0)
	v_sub_f32_e32 v32, v36, v35
	v_fmac_f32_e32 v35, s22, v32
	v_fma_f32 v32, -v27, v32, v36
	v_cndmask_b32_e64 v35, v32, v35, s[0:1]
	v_mov_b32_e32 v33, s11
	v_add_co_u32_e32 v32, vcc, s10, v25
	v_addc_co_u32_e32 v33, vcc, v26, v33, vcc
	global_store_dword v[32:33], v35, off
	s_or_b64 exec, exec, s[8:9]
	s_and_saveexec_b64 s[2:3], s[4:5]
	s_cbranch_execz .LBB25_19
.LBB25_23:                              ;   in Loop: Header=BB25_9 Depth=1
	s_waitcnt vmcnt(0)
	v_sub_f32_e32 v32, v34, v37
	v_fmac_f32_e32 v37, s22, v32
	v_fma_f32 v32, -v27, v32, v34
	v_cndmask_b32_e64 v34, v32, v37, s[0:1]
	v_mov_b32_e32 v33, s11
	v_add_co_u32_e32 v32, vcc, s10, v11
	v_addc_co_u32_e32 v33, vcc, v12, v33, vcc
	global_store_dword v[32:33], v34, off
	s_or_b64 exec, exec, s[2:3]
	s_and_saveexec_b64 s[2:3], s[6:7]
	s_cbranch_execz .LBB25_8
.LBB25_24:                              ;   in Loop: Header=BB25_9 Depth=1
	s_waitcnt vmcnt(0)
	v_sub_f32_e32 v32, v38, v39
	v_fmac_f32_e32 v39, s22, v32
	v_fma_f32 v32, -v27, v32, v38
	v_cndmask_b32_e64 v34, v32, v39, s[0:1]
	v_mov_b32_e32 v33, s11
	v_add_co_u32_e32 v32, vcc, s10, v5
	v_addc_co_u32_e32 v33, vcc, v6, v33, vcc
	global_store_dword v[32:33], v34, off
	s_branch .LBB25_8
.LBB25_25:
	s_endpgm
	.section	.rodata,"a",@progbits
	.p2align	6, 0x0
	.amdhsa_kernel _ZN2at6native12_GLOBAL__N_125multi_tensor_apply_kernelINS1_28TensorListScalarListMetadataIfLi3EEENS1_26TernaryOpScalarListFunctorIfLi3ELi2ELi2EEEJNS0_11LerpFunctorIfEEEEEvT_T0_DpT1_
		.amdhsa_group_segment_fixed_size 0
		.amdhsa_private_segment_fixed_size 0
		.amdhsa_kernarg_size 3592
		.amdhsa_user_sgpr_count 6
		.amdhsa_user_sgpr_private_segment_buffer 1
		.amdhsa_user_sgpr_dispatch_ptr 0
		.amdhsa_user_sgpr_queue_ptr 0
		.amdhsa_user_sgpr_kernarg_segment_ptr 1
		.amdhsa_user_sgpr_dispatch_id 0
		.amdhsa_user_sgpr_flat_scratch_init 0
		.amdhsa_user_sgpr_private_segment_size 0
		.amdhsa_uses_dynamic_stack 0
		.amdhsa_system_sgpr_private_segment_wavefront_offset 0
		.amdhsa_system_sgpr_workgroup_id_x 1
		.amdhsa_system_sgpr_workgroup_id_y 0
		.amdhsa_system_sgpr_workgroup_id_z 0
		.amdhsa_system_sgpr_workgroup_info 0
		.amdhsa_system_vgpr_workitem_id 0
		.amdhsa_next_free_vgpr 44
		.amdhsa_next_free_sgpr 31
		.amdhsa_reserve_vcc 1
		.amdhsa_reserve_flat_scratch 0
		.amdhsa_float_round_mode_32 0
		.amdhsa_float_round_mode_16_64 0
		.amdhsa_float_denorm_mode_32 3
		.amdhsa_float_denorm_mode_16_64 3
		.amdhsa_dx10_clamp 1
		.amdhsa_ieee_mode 1
		.amdhsa_fp16_overflow 0
		.amdhsa_exception_fp_ieee_invalid_op 0
		.amdhsa_exception_fp_denorm_src 0
		.amdhsa_exception_fp_ieee_div_zero 0
		.amdhsa_exception_fp_ieee_overflow 0
		.amdhsa_exception_fp_ieee_underflow 0
		.amdhsa_exception_fp_ieee_inexact 0
		.amdhsa_exception_int_div_zero 0
	.end_amdhsa_kernel
	.section	.text._ZN2at6native12_GLOBAL__N_125multi_tensor_apply_kernelINS1_28TensorListScalarListMetadataIfLi3EEENS1_26TernaryOpScalarListFunctorIfLi3ELi2ELi2EEEJNS0_11LerpFunctorIfEEEEEvT_T0_DpT1_,"axG",@progbits,_ZN2at6native12_GLOBAL__N_125multi_tensor_apply_kernelINS1_28TensorListScalarListMetadataIfLi3EEENS1_26TernaryOpScalarListFunctorIfLi3ELi2ELi2EEEJNS0_11LerpFunctorIfEEEEEvT_T0_DpT1_,comdat
.Lfunc_end25:
	.size	_ZN2at6native12_GLOBAL__N_125multi_tensor_apply_kernelINS1_28TensorListScalarListMetadataIfLi3EEENS1_26TernaryOpScalarListFunctorIfLi3ELi2ELi2EEEJNS0_11LerpFunctorIfEEEEEvT_T0_DpT1_, .Lfunc_end25-_ZN2at6native12_GLOBAL__N_125multi_tensor_apply_kernelINS1_28TensorListScalarListMetadataIfLi3EEENS1_26TernaryOpScalarListFunctorIfLi3ELi2ELi2EEEJNS0_11LerpFunctorIfEEEEEvT_T0_DpT1_
                                        ; -- End function
	.set _ZN2at6native12_GLOBAL__N_125multi_tensor_apply_kernelINS1_28TensorListScalarListMetadataIfLi3EEENS1_26TernaryOpScalarListFunctorIfLi3ELi2ELi2EEEJNS0_11LerpFunctorIfEEEEEvT_T0_DpT1_.num_vgpr, 44
	.set _ZN2at6native12_GLOBAL__N_125multi_tensor_apply_kernelINS1_28TensorListScalarListMetadataIfLi3EEENS1_26TernaryOpScalarListFunctorIfLi3ELi2ELi2EEEJNS0_11LerpFunctorIfEEEEEvT_T0_DpT1_.num_agpr, 0
	.set _ZN2at6native12_GLOBAL__N_125multi_tensor_apply_kernelINS1_28TensorListScalarListMetadataIfLi3EEENS1_26TernaryOpScalarListFunctorIfLi3ELi2ELi2EEEJNS0_11LerpFunctorIfEEEEEvT_T0_DpT1_.numbered_sgpr, 31
	.set _ZN2at6native12_GLOBAL__N_125multi_tensor_apply_kernelINS1_28TensorListScalarListMetadataIfLi3EEENS1_26TernaryOpScalarListFunctorIfLi3ELi2ELi2EEEJNS0_11LerpFunctorIfEEEEEvT_T0_DpT1_.num_named_barrier, 0
	.set _ZN2at6native12_GLOBAL__N_125multi_tensor_apply_kernelINS1_28TensorListScalarListMetadataIfLi3EEENS1_26TernaryOpScalarListFunctorIfLi3ELi2ELi2EEEJNS0_11LerpFunctorIfEEEEEvT_T0_DpT1_.private_seg_size, 0
	.set _ZN2at6native12_GLOBAL__N_125multi_tensor_apply_kernelINS1_28TensorListScalarListMetadataIfLi3EEENS1_26TernaryOpScalarListFunctorIfLi3ELi2ELi2EEEJNS0_11LerpFunctorIfEEEEEvT_T0_DpT1_.uses_vcc, 1
	.set _ZN2at6native12_GLOBAL__N_125multi_tensor_apply_kernelINS1_28TensorListScalarListMetadataIfLi3EEENS1_26TernaryOpScalarListFunctorIfLi3ELi2ELi2EEEJNS0_11LerpFunctorIfEEEEEvT_T0_DpT1_.uses_flat_scratch, 0
	.set _ZN2at6native12_GLOBAL__N_125multi_tensor_apply_kernelINS1_28TensorListScalarListMetadataIfLi3EEENS1_26TernaryOpScalarListFunctorIfLi3ELi2ELi2EEEJNS0_11LerpFunctorIfEEEEEvT_T0_DpT1_.has_dyn_sized_stack, 0
	.set _ZN2at6native12_GLOBAL__N_125multi_tensor_apply_kernelINS1_28TensorListScalarListMetadataIfLi3EEENS1_26TernaryOpScalarListFunctorIfLi3ELi2ELi2EEEJNS0_11LerpFunctorIfEEEEEvT_T0_DpT1_.has_recursion, 0
	.set _ZN2at6native12_GLOBAL__N_125multi_tensor_apply_kernelINS1_28TensorListScalarListMetadataIfLi3EEENS1_26TernaryOpScalarListFunctorIfLi3ELi2ELi2EEEJNS0_11LerpFunctorIfEEEEEvT_T0_DpT1_.has_indirect_call, 0
	.section	.AMDGPU.csdata,"",@progbits
; Kernel info:
; codeLenInByte = 1792
; TotalNumSgprs: 35
; NumVgprs: 44
; ScratchSize: 0
; MemoryBound: 0
; FloatMode: 240
; IeeeMode: 1
; LDSByteSize: 0 bytes/workgroup (compile time only)
; SGPRBlocks: 4
; VGPRBlocks: 10
; NumSGPRsForWavesPerEU: 35
; NumVGPRsForWavesPerEU: 44
; Occupancy: 5
; WaveLimiterHint : 0
; COMPUTE_PGM_RSRC2:SCRATCH_EN: 0
; COMPUTE_PGM_RSRC2:USER_SGPR: 6
; COMPUTE_PGM_RSRC2:TRAP_HANDLER: 0
; COMPUTE_PGM_RSRC2:TGID_X_EN: 1
; COMPUTE_PGM_RSRC2:TGID_Y_EN: 0
; COMPUTE_PGM_RSRC2:TGID_Z_EN: 0
; COMPUTE_PGM_RSRC2:TIDIG_COMP_CNT: 0
	.section	.text._ZN2at6native12_GLOBAL__N_125multi_tensor_apply_kernelINS1_28TensorListScalarListMetadataIN3c107complexIdEELi3EEENS1_26TernaryOpScalarListFunctorIS6_Li3ELi2ELi2EEEJNS0_11LerpFunctorIS6_EEEEEvT_T0_DpT1_,"axG",@progbits,_ZN2at6native12_GLOBAL__N_125multi_tensor_apply_kernelINS1_28TensorListScalarListMetadataIN3c107complexIdEELi3EEENS1_26TernaryOpScalarListFunctorIS6_Li3ELi2ELi2EEEJNS0_11LerpFunctorIS6_EEEEEvT_T0_DpT1_,comdat
	.globl	_ZN2at6native12_GLOBAL__N_125multi_tensor_apply_kernelINS1_28TensorListScalarListMetadataIN3c107complexIdEELi3EEENS1_26TernaryOpScalarListFunctorIS6_Li3ELi2ELi2EEEJNS0_11LerpFunctorIS6_EEEEEvT_T0_DpT1_ ; -- Begin function _ZN2at6native12_GLOBAL__N_125multi_tensor_apply_kernelINS1_28TensorListScalarListMetadataIN3c107complexIdEELi3EEENS1_26TernaryOpScalarListFunctorIS6_Li3ELi2ELi2EEEJNS0_11LerpFunctorIS6_EEEEEvT_T0_DpT1_
	.p2align	8
	.type	_ZN2at6native12_GLOBAL__N_125multi_tensor_apply_kernelINS1_28TensorListScalarListMetadataIN3c107complexIdEELi3EEENS1_26TernaryOpScalarListFunctorIS6_Li3ELi2ELi2EEEJNS0_11LerpFunctorIS6_EEEEEvT_T0_DpT1_,@function
_ZN2at6native12_GLOBAL__N_125multi_tensor_apply_kernelINS1_28TensorListScalarListMetadataIN3c107complexIdEELi3EEENS1_26TernaryOpScalarListFunctorIS6_Li3ELi2ELi2EEEJNS0_11LerpFunctorIS6_EEEEEvT_T0_DpT1_: ; @_ZN2at6native12_GLOBAL__N_125multi_tensor_apply_kernelINS1_28TensorListScalarListMetadataIN3c107complexIdEELi3EEENS1_26TernaryOpScalarListFunctorIS6_Li3ELi2ELi2EEEJNS0_11LerpFunctorIS6_EEEEEvT_T0_DpT1_
; %bb.0:
	v_mov_b32_e32 v1, s6
	global_load_ubyte v1, v1, s[4:5] offset:2304
	s_add_u32 s0, s4, s6
	s_mul_hi_u32 s1, s6, 3
	s_mul_i32 s6, s6, 3
	s_addc_u32 s2, s5, 0
	s_add_u32 s0, s0, s6
	s_addc_u32 s1, s2, s1
	s_load_dword s0, s[0:1], 0xa40
	s_mov_b32 s3, 0
	s_mov_b32 s9, s3
	s_waitcnt lgkmcnt(0)
	s_ashr_i32 s1, s0, 31
	s_waitcnt vmcnt(0)
	v_readfirstlane_b32 s2, v1
	s_lshl_b32 s2, s2, 3
	s_load_dwordx2 s[10:11], s[4:5], s2 offset:0x480
	s_load_dwordx2 s[16:17], s[4:5], s2 offset:0x0
	;; [unrolled: 1-line block ×4, first 2 shown]
	s_add_u32 s6, s4, s2
	s_addc_u32 s7, s5, 0
	s_lshl_b64 s[22:23], s[0:1], 20
	s_waitcnt lgkmcnt(0)
	s_add_u32 s16, s16, s22
	s_addc_u32 s17, s17, s23
	s_add_u32 s18, s18, s22
	s_addc_u32 s19, s19, s23
	s_add_u32 s20, s20, s22
	s_load_dwordx4 s[12:15], s[6:7], s2 offset:0x600
	s_addc_u32 s21, s21, s23
	s_or_b32 s6, s20, s18
	s_lshl_b64 s[0:1], s[0:1], 16
	s_and_b32 s2, s16, 63
	s_and_b32 s6, s6, 63
	s_cmp_lg_u32 s6, 0
	s_cselect_b64 s[22:23], -1, 0
	s_sub_u32 s6, s10, s0
	s_subb_u32 s7, s11, s1
	s_and_b32 s8, s10, 3
	s_or_b64 s[0:1], s[2:3], s[8:9]
	s_cmp_lg_u64 s[0:1], 0
	s_cselect_b64 s[0:1], -1, 0
	s_or_b64 s[0:1], s[22:23], s[0:1]
	s_andn2_b64 vcc, exec, s[0:1]
	s_mov_b64 s[0:1], -1
	s_cbranch_vccz .LBB26_21
; %bb.1:
	v_mov_b32_e32 v1, 0x10000
	v_mov_b32_e32 v2, 0
	v_cmp_lt_i64_e32 vcc, s[6:7], v[1:2]
	v_mov_b32_e32 v2, 0
	s_and_b64 s[0:1], vcc, exec
	s_cselect_b32 s9, s7, 0
	s_cselect_b32 s8, s6, 0x10000
	v_lshlrev_b32_e32 v1, 2, v0
	v_cmp_gt_i64_e32 vcc, s[8:9], v[1:2]
	s_and_saveexec_b64 s[10:11], vcc
	s_cbranch_execz .LBB26_20
; %bb.2:
	s_waitcnt lgkmcnt(0)
	v_mul_f64 v[3:4], s[14:15], s[14:15]
	s_mov_b32 s0, 0
	s_mov_b32 s1, 0x3fd00000
	v_add_f64 v[37:38], -s[12:13], 1.0
	v_add_f64 v[39:40], -s[14:15], 0
	s_load_dword s2, s[4:5], 0xf54
	v_mov_b32_e32 v1, v2
	v_mov_b32_e32 v42, v1
	v_fma_f64 v[3:4], s[12:13], s[12:13], v[3:4]
	s_mov_b64 s[22:23], 0
	s_waitcnt lgkmcnt(0)
	s_and_b32 s33, s2, 0xffff
	v_lshlrev_b32_e32 v47, 6, v0
	s_lshl_b32 s34, s33, 6
	s_mov_b64 s[24:25], s[18:19]
	s_mov_b64 s[26:27], s[16:17]
	;; [unrolled: 1-line block ×3, first 2 shown]
	v_cmp_ngt_f64_e64 s[0:1], s[0:1], v[3:4]
	v_mov_b32_e32 v41, v0
	s_branch .LBB26_4
.LBB26_3:                               ;   in Loop: Header=BB26_4 Depth=1
	v_mov_b32_e32 v2, s29
	v_add_co_u32_e32 v1, vcc, s28, v47
	v_addc_co_u32_e32 v2, vcc, 0, v2, vcc
	v_add_co_u32_e32 v41, vcc, s33, v41
	s_add_u32 s28, s28, s34
	v_addc_co_u32_e32 v42, vcc, 0, v42, vcc
	s_addc_u32 s29, s29, 0
	v_lshlrev_b64 v[3:4], 2, v[41:42]
	s_add_u32 s26, s26, s34
	s_addc_u32 s27, s27, 0
	s_add_u32 s24, s24, s34
	v_cmp_le_i64_e32 vcc, s[8:9], v[3:4]
	s_addc_u32 s25, s25, 0
	s_or_b64 s[22:23], vcc, s[22:23]
	global_store_dwordx4 v[1:2], v[5:8], off
	global_store_dwordx4 v[1:2], v[17:20], off offset:16
	global_store_dwordx4 v[1:2], v[25:28], off offset:32
	global_store_dwordx4 v[1:2], v[13:16], off offset:48
	s_andn2_b64 exec, exec, s[22:23]
	s_cbranch_execz .LBB26_20
.LBB26_4:                               ; =>This Inner Loop Header: Depth=1
	v_mov_b32_e32 v1, s27
	v_add_co_u32_e32 v5, vcc, s26, v47
	v_addc_co_u32_e32 v6, vcc, 0, v1, vcc
	v_mov_b32_e32 v1, s25
	v_add_co_u32_e32 v7, vcc, s24, v47
	v_addc_co_u32_e32 v8, vcc, 0, v1, vcc
	global_load_dwordx4 v[33:36], v[7:8], off
	global_load_dwordx4 v[17:20], v[5:6], off
	global_load_dwordx4 v[25:28], v[5:6], off offset:16
	global_load_dwordx4 v[1:4], v[5:6], off offset:48
	global_load_dwordx4 v[13:16], v[5:6], off offset:32
	global_load_dwordx4 v[29:32], v[7:8], off offset:16
	global_load_dwordx4 v[9:12], v[7:8], off offset:48
	global_load_dwordx4 v[21:24], v[7:8], off offset:32
	s_mov_b64 s[2:3], -1
	s_and_b64 vcc, exec, s[0:1]
                                        ; implicit-def: $vgpr7_vgpr8
	s_waitcnt vmcnt(6)
	v_add_f64 v[43:44], v[33:34], -v[17:18]
	v_add_f64 v[45:46], v[35:36], -v[19:20]
	s_cbranch_vccz .LBB26_6
; %bb.5:                                ;   in Loop: Header=BB26_4 Depth=1
	v_mul_f64 v[5:6], v[39:40], v[45:46]
	v_mul_f64 v[7:8], v[37:38], v[45:46]
	s_mov_b64 s[2:3], 0
	v_fma_f64 v[5:6], v[37:38], v[43:44], -v[5:6]
	v_fma_f64 v[7:8], v[39:40], v[43:44], v[7:8]
	v_add_f64 v[5:6], v[33:34], -v[5:6]
	v_add_f64 v[7:8], v[35:36], -v[7:8]
.LBB26_6:                               ;   in Loop: Header=BB26_4 Depth=1
	s_andn2_b64 vcc, exec, s[2:3]
	s_cbranch_vccnz .LBB26_8
; %bb.7:                                ;   in Loop: Header=BB26_4 Depth=1
	v_mul_f64 v[5:6], s[14:15], v[45:46]
	v_mul_f64 v[7:8], s[12:13], v[45:46]
	v_fma_f64 v[5:6], s[12:13], v[43:44], -v[5:6]
	v_fma_f64 v[7:8], s[14:15], v[43:44], v[7:8]
	v_add_f64 v[5:6], v[17:18], v[5:6]
	v_add_f64 v[7:8], v[19:20], v[7:8]
.LBB26_8:                               ;   in Loop: Header=BB26_4 Depth=1
	s_waitcnt vmcnt(2)
	v_add_f64 v[33:34], v[29:30], -v[25:26]
	v_add_f64 v[35:36], v[31:32], -v[27:28]
	v_cndmask_b32_e64 v17, 0, 1, s[0:1]
	v_cmp_ne_u32_e64 s[2:3], 1, v17
	s_andn2_b64 vcc, exec, s[0:1]
	s_mov_b64 s[30:31], -1
                                        ; implicit-def: $vgpr19_vgpr20
	s_cbranch_vccnz .LBB26_10
; %bb.9:                                ;   in Loop: Header=BB26_4 Depth=1
	v_mul_f64 v[17:18], v[39:40], v[35:36]
	v_mul_f64 v[19:20], v[37:38], v[35:36]
	s_mov_b64 s[30:31], 0
	v_fma_f64 v[17:18], v[37:38], v[33:34], -v[17:18]
	v_fma_f64 v[19:20], v[39:40], v[33:34], v[19:20]
	v_add_f64 v[17:18], v[29:30], -v[17:18]
	v_add_f64 v[19:20], v[31:32], -v[19:20]
.LBB26_10:                              ;   in Loop: Header=BB26_4 Depth=1
	s_andn2_b64 vcc, exec, s[30:31]
	s_cbranch_vccnz .LBB26_12
; %bb.11:                               ;   in Loop: Header=BB26_4 Depth=1
	v_mul_f64 v[17:18], s[14:15], v[35:36]
	v_mul_f64 v[19:20], s[12:13], v[35:36]
	v_fma_f64 v[17:18], s[12:13], v[33:34], -v[17:18]
	v_fma_f64 v[19:20], s[14:15], v[33:34], v[19:20]
	v_add_f64 v[17:18], v[25:26], v[17:18]
	v_add_f64 v[19:20], v[27:28], v[19:20]
.LBB26_12:                              ;   in Loop: Header=BB26_4 Depth=1
	s_waitcnt vmcnt(0)
	v_add_f64 v[29:30], v[21:22], -v[13:14]
	v_add_f64 v[31:32], v[23:24], -v[15:16]
	s_and_b64 vcc, exec, s[2:3]
	s_mov_b64 s[30:31], -1
                                        ; implicit-def: $vgpr27_vgpr28
	s_cbranch_vccnz .LBB26_14
; %bb.13:                               ;   in Loop: Header=BB26_4 Depth=1
	v_mul_f64 v[25:26], v[39:40], v[31:32]
	v_mul_f64 v[27:28], v[37:38], v[31:32]
	s_mov_b64 s[30:31], 0
	v_fma_f64 v[25:26], v[37:38], v[29:30], -v[25:26]
	v_fma_f64 v[27:28], v[39:40], v[29:30], v[27:28]
	v_add_f64 v[25:26], v[21:22], -v[25:26]
	v_add_f64 v[27:28], v[23:24], -v[27:28]
.LBB26_14:                              ;   in Loop: Header=BB26_4 Depth=1
	s_andn2_b64 vcc, exec, s[30:31]
	s_cbranch_vccnz .LBB26_16
; %bb.15:                               ;   in Loop: Header=BB26_4 Depth=1
	v_mul_f64 v[21:22], s[14:15], v[31:32]
	v_mul_f64 v[23:24], s[12:13], v[31:32]
	v_fma_f64 v[21:22], s[12:13], v[29:30], -v[21:22]
	v_fma_f64 v[23:24], s[14:15], v[29:30], v[23:24]
	v_add_f64 v[25:26], v[13:14], v[21:22]
	v_add_f64 v[27:28], v[15:16], v[23:24]
.LBB26_16:                              ;   in Loop: Header=BB26_4 Depth=1
	v_add_f64 v[21:22], v[9:10], -v[1:2]
	v_add_f64 v[23:24], v[11:12], -v[3:4]
	s_and_b64 vcc, exec, s[2:3]
	s_mov_b64 s[2:3], -1
                                        ; implicit-def: $vgpr15_vgpr16
	s_cbranch_vccnz .LBB26_18
; %bb.17:                               ;   in Loop: Header=BB26_4 Depth=1
	v_mul_f64 v[13:14], v[39:40], v[23:24]
	v_mul_f64 v[15:16], v[37:38], v[23:24]
	s_mov_b64 s[2:3], 0
	v_fma_f64 v[13:14], v[37:38], v[21:22], -v[13:14]
	v_fma_f64 v[15:16], v[39:40], v[21:22], v[15:16]
	v_add_f64 v[13:14], v[9:10], -v[13:14]
	v_add_f64 v[15:16], v[11:12], -v[15:16]
.LBB26_18:                              ;   in Loop: Header=BB26_4 Depth=1
	s_andn2_b64 vcc, exec, s[2:3]
	s_cbranch_vccnz .LBB26_3
; %bb.19:                               ;   in Loop: Header=BB26_4 Depth=1
	v_mul_f64 v[9:10], s[14:15], v[23:24]
	v_mul_f64 v[11:12], s[12:13], v[23:24]
	v_fma_f64 v[9:10], s[12:13], v[21:22], -v[9:10]
	v_fma_f64 v[11:12], s[14:15], v[21:22], v[11:12]
	v_add_f64 v[13:14], v[1:2], v[9:10]
	v_add_f64 v[15:16], v[3:4], v[11:12]
	s_branch .LBB26_3
.LBB26_20:
	s_or_b64 exec, exec, s[10:11]
	s_mov_b64 s[0:1], 0
.LBB26_21:
	s_andn2_b64 vcc, exec, s[0:1]
	s_cbranch_vccnz .LBB26_57
; %bb.22:
	v_cmp_lt_i64_e64 s[0:1], s[6:7], 1
	s_and_b64 vcc, exec, s[0:1]
	s_cbranch_vccnz .LBB26_57
; %bb.23:
	s_waitcnt lgkmcnt(0)
	v_mul_f64 v[1:2], s[14:15], s[14:15]
	s_mov_b32 s0, 0
	s_mov_b32 s1, 0x3fd00000
	v_mov_b32_e32 v3, 0x10000
	s_load_dword s8, s[4:5], 0xf54
	v_add_f64 v[37:38], -s[12:13], 1.0
	v_add_f64 v[39:40], -s[14:15], 0
	v_mov_b32_e32 v4, 0
	v_fma_f64 v[1:2], s[12:13], s[12:13], v[1:2]
	v_cmp_lt_i64_e32 vcc, s[6:7], v[3:4]
	v_cmp_lt_u64_e64 s[2:3], s[6:7], v[3:4]
	s_and_b64 s[4:5], vcc, exec
	s_cselect_b32 s23, s7, 0
	s_cselect_b32 s22, s6, 0x10000
	s_waitcnt lgkmcnt(0)
	s_and_b32 s30, s8, 0xffff
	s_and_b64 s[2:3], s[2:3], exec
	v_cmp_ngt_f64_e64 s[0:1], s[0:1], v[1:2]
	s_cselect_b32 s25, s7, 0
	s_cselect_b32 s24, s6, 0x10000
	s_lshl_b32 s31, s30, 1
	s_mul_i32 s33, s30, 3
	s_mov_b64 s[26:27], 0
	s_lshl_b32 s34, s30, 2
	s_branch .LBB26_25
.LBB26_24:                              ;   in Loop: Header=BB26_25 Depth=1
	s_or_b64 exec, exec, s[2:3]
	s_add_u32 s26, s26, s34
	v_mov_b32_e32 v1, s22
	s_addc_u32 s27, s27, 0
	v_mov_b32_e32 v2, s23
	v_cmp_ge_i64_e32 vcc, s[26:27], v[1:2]
	s_cbranch_vccnz .LBB26_57
.LBB26_25:                              ; =>This Inner Loop Header: Depth=1
	v_mov_b32_e32 v1, s27
	v_add_co_u32_e32 v41, vcc, s26, v0
	v_addc_co_u32_e32 v42, vcc, 0, v1, vcc
	v_cmp_gt_u64_e64 s[2:3], s[24:25], v[41:42]
	v_mov_b32_e32 v3, 0
	v_mov_b32_e32 v27, 0
	;; [unrolled: 1-line block ×10, first 2 shown]
	s_and_saveexec_b64 s[4:5], s[2:3]
	s_cbranch_execz .LBB26_27
; %bb.26:                               ;   in Loop: Header=BB26_25 Depth=1
	v_lshlrev_b64 v[1:2], 4, v[41:42]
	v_mov_b32_e32 v6, s19
	v_add_co_u32_e32 v5, vcc, s18, v1
	v_addc_co_u32_e32 v6, vcc, v6, v2, vcc
	v_mov_b32_e32 v7, s17
	v_add_co_u32_e32 v1, vcc, s16, v1
	v_addc_co_u32_e32 v2, vcc, v7, v2, vcc
	global_load_dwordx4 v[9:12], v[1:2], off
	global_load_dwordx4 v[25:28], v[5:6], off
.LBB26_27:                              ;   in Loop: Header=BB26_25 Depth=1
	s_or_b64 exec, exec, s[4:5]
	v_add_co_u32_e32 v43, vcc, s30, v41
	v_addc_co_u32_e32 v44, vcc, 0, v42, vcc
	v_cmp_gt_u64_e64 s[4:5], s[24:25], v[43:44]
	v_mov_b32_e32 v1, 0
	v_mov_b32_e32 v15, 0
	;; [unrolled: 1-line block ×6, first 2 shown]
	s_and_saveexec_b64 s[6:7], s[4:5]
	s_cbranch_execz .LBB26_29
; %bb.28:                               ;   in Loop: Header=BB26_25 Depth=1
	v_lshlrev_b64 v[1:2], 4, v[43:44]
	v_mov_b32_e32 v3, s19
	v_add_co_u32_e32 v5, vcc, s18, v1
	v_addc_co_u32_e32 v6, vcc, v3, v2, vcc
	v_mov_b32_e32 v3, s17
	v_add_co_u32_e32 v7, vcc, s16, v1
	v_addc_co_u32_e32 v8, vcc, v3, v2, vcc
	global_load_dwordx4 v[13:16], v[7:8], off
	global_load_dwordx4 v[1:4], v[5:6], off
.LBB26_29:                              ;   in Loop: Header=BB26_25 Depth=1
	s_or_b64 exec, exec, s[6:7]
	v_add_co_u32_e32 v45, vcc, s31, v41
	v_addc_co_u32_e32 v46, vcc, 0, v42, vcc
	v_cmp_gt_u64_e64 s[6:7], s[24:25], v[45:46]
	v_mov_b32_e32 v7, 0
	v_mov_b32_e32 v31, 0
	;; [unrolled: 1-line block ×10, first 2 shown]
	s_and_saveexec_b64 s[8:9], s[6:7]
	s_cbranch_execz .LBB26_31
; %bb.30:                               ;   in Loop: Header=BB26_25 Depth=1
	v_lshlrev_b64 v[5:6], 4, v[45:46]
	v_mov_b32_e32 v17, s19
	v_add_co_u32_e32 v21, vcc, s18, v5
	v_addc_co_u32_e32 v22, vcc, v17, v6, vcc
	v_mov_b32_e32 v17, s17
	v_add_co_u32_e32 v5, vcc, s16, v5
	v_addc_co_u32_e32 v6, vcc, v17, v6, vcc
	global_load_dwordx4 v[17:20], v[5:6], off
	global_load_dwordx4 v[29:32], v[21:22], off
.LBB26_31:                              ;   in Loop: Header=BB26_25 Depth=1
	s_or_b64 exec, exec, s[8:9]
	v_add_co_u32_e32 v47, vcc, s33, v41
	v_addc_co_u32_e32 v48, vcc, 0, v42, vcc
	v_cmp_gt_u64_e64 s[8:9], s[24:25], v[47:48]
	v_mov_b32_e32 v5, 0
	v_mov_b32_e32 v23, 0
	;; [unrolled: 1-line block ×6, first 2 shown]
	s_and_saveexec_b64 s[10:11], s[8:9]
	s_cbranch_execz .LBB26_33
; %bb.32:                               ;   in Loop: Header=BB26_25 Depth=1
	v_lshlrev_b64 v[5:6], 4, v[47:48]
	v_mov_b32_e32 v7, s19
	v_add_co_u32_e32 v33, vcc, s18, v5
	v_addc_co_u32_e32 v34, vcc, v7, v6, vcc
	v_mov_b32_e32 v7, s17
	v_add_co_u32_e32 v35, vcc, s16, v5
	v_addc_co_u32_e32 v36, vcc, v7, v6, vcc
	global_load_dwordx4 v[21:24], v[35:36], off
	global_load_dwordx4 v[5:8], v[33:34], off
.LBB26_33:                              ;   in Loop: Header=BB26_25 Depth=1
	s_or_b64 exec, exec, s[10:11]
	s_waitcnt vmcnt(0)
	v_add_f64 v[49:50], v[25:26], -v[9:10]
	v_add_f64 v[51:52], v[27:28], -v[11:12]
	s_mov_b64 s[10:11], -1
	s_and_b64 vcc, exec, s[0:1]
                                        ; implicit-def: $vgpr35_vgpr36
	s_cbranch_vccz .LBB26_35
; %bb.34:                               ;   in Loop: Header=BB26_25 Depth=1
	v_mul_f64 v[33:34], v[39:40], v[51:52]
	v_mul_f64 v[35:36], v[39:40], v[49:50]
	s_mov_b64 s[10:11], 0
	v_fma_f64 v[33:34], v[37:38], v[49:50], -v[33:34]
	v_fma_f64 v[35:36], v[37:38], v[51:52], v[35:36]
	v_add_f64 v[33:34], v[25:26], -v[33:34]
	v_add_f64 v[35:36], v[27:28], -v[35:36]
.LBB26_35:                              ;   in Loop: Header=BB26_25 Depth=1
	s_andn2_b64 vcc, exec, s[10:11]
	s_cbranch_vccnz .LBB26_37
; %bb.36:                               ;   in Loop: Header=BB26_25 Depth=1
	v_mul_f64 v[25:26], s[14:15], v[51:52]
	v_mul_f64 v[27:28], s[14:15], v[49:50]
	v_fma_f64 v[25:26], s[12:13], v[49:50], -v[25:26]
	v_fma_f64 v[27:28], s[12:13], v[51:52], v[27:28]
	v_add_f64 v[33:34], v[9:10], v[25:26]
	v_add_f64 v[35:36], v[11:12], v[27:28]
.LBB26_37:                              ;   in Loop: Header=BB26_25 Depth=1
	v_add_f64 v[25:26], v[1:2], -v[13:14]
	v_add_f64 v[27:28], v[3:4], -v[15:16]
	v_cndmask_b32_e64 v9, 0, 1, s[0:1]
	v_cmp_ne_u32_e64 s[10:11], 1, v9
	s_andn2_b64 vcc, exec, s[0:1]
	s_mov_b64 s[28:29], -1
                                        ; implicit-def: $vgpr11_vgpr12
	s_cbranch_vccnz .LBB26_39
; %bb.38:                               ;   in Loop: Header=BB26_25 Depth=1
	v_mul_f64 v[9:10], v[39:40], v[27:28]
	v_mul_f64 v[11:12], v[39:40], v[25:26]
	s_mov_b64 s[28:29], 0
	v_fma_f64 v[9:10], v[37:38], v[25:26], -v[9:10]
	v_fma_f64 v[11:12], v[37:38], v[27:28], v[11:12]
	v_add_f64 v[9:10], v[1:2], -v[9:10]
	v_add_f64 v[11:12], v[3:4], -v[11:12]
.LBB26_39:                              ;   in Loop: Header=BB26_25 Depth=1
	s_andn2_b64 vcc, exec, s[28:29]
	s_cbranch_vccnz .LBB26_41
; %bb.40:                               ;   in Loop: Header=BB26_25 Depth=1
	v_mul_f64 v[1:2], s[14:15], v[27:28]
	v_mul_f64 v[3:4], s[14:15], v[25:26]
	v_fma_f64 v[1:2], s[12:13], v[25:26], -v[1:2]
	v_fma_f64 v[3:4], s[12:13], v[27:28], v[3:4]
	v_add_f64 v[9:10], v[13:14], v[1:2]
	v_add_f64 v[11:12], v[15:16], v[3:4]
.LBB26_41:                              ;   in Loop: Header=BB26_25 Depth=1
	v_add_f64 v[13:14], v[29:30], -v[17:18]
	v_add_f64 v[15:16], v[31:32], -v[19:20]
	s_and_b64 vcc, exec, s[10:11]
	s_mov_b64 s[28:29], -1
                                        ; implicit-def: $vgpr3_vgpr4
	s_cbranch_vccnz .LBB26_43
; %bb.42:                               ;   in Loop: Header=BB26_25 Depth=1
	v_mul_f64 v[1:2], v[39:40], v[15:16]
	v_mul_f64 v[3:4], v[39:40], v[13:14]
	s_mov_b64 s[28:29], 0
	v_fma_f64 v[1:2], v[37:38], v[13:14], -v[1:2]
	v_fma_f64 v[3:4], v[37:38], v[15:16], v[3:4]
	v_add_f64 v[1:2], v[29:30], -v[1:2]
	v_add_f64 v[3:4], v[31:32], -v[3:4]
.LBB26_43:                              ;   in Loop: Header=BB26_25 Depth=1
	s_andn2_b64 vcc, exec, s[28:29]
	s_cbranch_vccnz .LBB26_45
; %bb.44:                               ;   in Loop: Header=BB26_25 Depth=1
	v_mul_f64 v[1:2], s[14:15], v[15:16]
	v_mul_f64 v[3:4], s[14:15], v[13:14]
	v_fma_f64 v[1:2], s[12:13], v[13:14], -v[1:2]
	v_fma_f64 v[3:4], s[12:13], v[15:16], v[3:4]
	v_add_f64 v[1:2], v[17:18], v[1:2]
	v_add_f64 v[3:4], v[19:20], v[3:4]
.LBB26_45:                              ;   in Loop: Header=BB26_25 Depth=1
	v_add_f64 v[17:18], v[5:6], -v[21:22]
	v_add_f64 v[19:20], v[7:8], -v[23:24]
	s_and_b64 vcc, exec, s[10:11]
	s_mov_b64 s[10:11], -1
                                        ; implicit-def: $vgpr15_vgpr16
	s_cbranch_vccz .LBB26_51
; %bb.46:                               ;   in Loop: Header=BB26_25 Depth=1
	s_andn2_b64 vcc, exec, s[10:11]
	s_cbranch_vccz .LBB26_52
.LBB26_47:                              ;   in Loop: Header=BB26_25 Depth=1
	s_and_saveexec_b64 s[10:11], s[2:3]
	s_xor_b64 s[2:3], exec, s[10:11]
	s_cbranch_execnz .LBB26_53
.LBB26_48:                              ;   in Loop: Header=BB26_25 Depth=1
	s_or_b64 exec, exec, s[2:3]
	s_and_saveexec_b64 s[2:3], s[4:5]
	s_cbranch_execnz .LBB26_54
.LBB26_49:                              ;   in Loop: Header=BB26_25 Depth=1
	s_or_b64 exec, exec, s[2:3]
	s_and_saveexec_b64 s[2:3], s[6:7]
	s_cbranch_execnz .LBB26_55
.LBB26_50:                              ;   in Loop: Header=BB26_25 Depth=1
	s_or_b64 exec, exec, s[2:3]
	s_and_saveexec_b64 s[2:3], s[8:9]
	s_cbranch_execz .LBB26_24
	s_branch .LBB26_56
.LBB26_51:                              ;   in Loop: Header=BB26_25 Depth=1
	v_mul_f64 v[13:14], v[39:40], v[19:20]
	v_mul_f64 v[15:16], v[39:40], v[17:18]
	v_fma_f64 v[13:14], v[37:38], v[17:18], -v[13:14]
	v_fma_f64 v[15:16], v[37:38], v[19:20], v[15:16]
	v_add_f64 v[13:14], v[5:6], -v[13:14]
	v_add_f64 v[15:16], v[7:8], -v[15:16]
	s_cbranch_execnz .LBB26_47
.LBB26_52:                              ;   in Loop: Header=BB26_25 Depth=1
	v_mul_f64 v[5:6], s[14:15], v[19:20]
	v_mul_f64 v[7:8], s[14:15], v[17:18]
	v_fma_f64 v[5:6], s[12:13], v[17:18], -v[5:6]
	v_fma_f64 v[7:8], s[12:13], v[19:20], v[7:8]
	v_add_f64 v[13:14], v[21:22], v[5:6]
	v_add_f64 v[15:16], v[23:24], v[7:8]
	s_and_saveexec_b64 s[10:11], s[2:3]
	s_xor_b64 s[2:3], exec, s[10:11]
	s_cbranch_execz .LBB26_48
.LBB26_53:                              ;   in Loop: Header=BB26_25 Depth=1
	v_lshlrev_b64 v[5:6], 4, v[41:42]
	v_mov_b32_e32 v7, s21
	v_add_co_u32_e32 v5, vcc, s20, v5
	v_addc_co_u32_e32 v6, vcc, v7, v6, vcc
	global_store_dwordx4 v[5:6], v[33:36], off
	s_or_b64 exec, exec, s[2:3]
	s_and_saveexec_b64 s[2:3], s[4:5]
	s_cbranch_execz .LBB26_49
.LBB26_54:                              ;   in Loop: Header=BB26_25 Depth=1
	v_lshlrev_b64 v[5:6], 4, v[43:44]
	v_mov_b32_e32 v7, s21
	v_add_co_u32_e32 v5, vcc, s20, v5
	v_addc_co_u32_e32 v6, vcc, v7, v6, vcc
	global_store_dwordx4 v[5:6], v[9:12], off
	s_or_b64 exec, exec, s[2:3]
	s_and_saveexec_b64 s[2:3], s[6:7]
	s_cbranch_execz .LBB26_50
.LBB26_55:                              ;   in Loop: Header=BB26_25 Depth=1
	v_lshlrev_b64 v[5:6], 4, v[45:46]
	v_mov_b32_e32 v7, s21
	v_add_co_u32_e32 v5, vcc, s20, v5
	v_addc_co_u32_e32 v6, vcc, v7, v6, vcc
	global_store_dwordx4 v[5:6], v[1:4], off
	s_or_b64 exec, exec, s[2:3]
	s_and_saveexec_b64 s[2:3], s[8:9]
	s_cbranch_execz .LBB26_24
.LBB26_56:                              ;   in Loop: Header=BB26_25 Depth=1
	v_lshlrev_b64 v[1:2], 4, v[47:48]
	v_mov_b32_e32 v3, s21
	v_add_co_u32_e32 v1, vcc, s20, v1
	v_addc_co_u32_e32 v2, vcc, v3, v2, vcc
	global_store_dwordx4 v[1:2], v[13:16], off
	s_branch .LBB26_24
.LBB26_57:
	s_endpgm
	.section	.rodata,"a",@progbits
	.p2align	6, 0x0
	.amdhsa_kernel _ZN2at6native12_GLOBAL__N_125multi_tensor_apply_kernelINS1_28TensorListScalarListMetadataIN3c107complexIdEELi3EEENS1_26TernaryOpScalarListFunctorIS6_Li3ELi2ELi2EEEJNS0_11LerpFunctorIS6_EEEEEvT_T0_DpT1_
		.amdhsa_group_segment_fixed_size 0
		.amdhsa_private_segment_fixed_size 0
		.amdhsa_kernarg_size 4168
		.amdhsa_user_sgpr_count 6
		.amdhsa_user_sgpr_private_segment_buffer 1
		.amdhsa_user_sgpr_dispatch_ptr 0
		.amdhsa_user_sgpr_queue_ptr 0
		.amdhsa_user_sgpr_kernarg_segment_ptr 1
		.amdhsa_user_sgpr_dispatch_id 0
		.amdhsa_user_sgpr_flat_scratch_init 0
		.amdhsa_user_sgpr_private_segment_size 0
		.amdhsa_uses_dynamic_stack 0
		.amdhsa_system_sgpr_private_segment_wavefront_offset 0
		.amdhsa_system_sgpr_workgroup_id_x 1
		.amdhsa_system_sgpr_workgroup_id_y 0
		.amdhsa_system_sgpr_workgroup_id_z 0
		.amdhsa_system_sgpr_workgroup_info 0
		.amdhsa_system_vgpr_workitem_id 0
		.amdhsa_next_free_vgpr 53
		.amdhsa_next_free_sgpr 35
		.amdhsa_reserve_vcc 1
		.amdhsa_reserve_flat_scratch 0
		.amdhsa_float_round_mode_32 0
		.amdhsa_float_round_mode_16_64 0
		.amdhsa_float_denorm_mode_32 3
		.amdhsa_float_denorm_mode_16_64 3
		.amdhsa_dx10_clamp 1
		.amdhsa_ieee_mode 1
		.amdhsa_fp16_overflow 0
		.amdhsa_exception_fp_ieee_invalid_op 0
		.amdhsa_exception_fp_denorm_src 0
		.amdhsa_exception_fp_ieee_div_zero 0
		.amdhsa_exception_fp_ieee_overflow 0
		.amdhsa_exception_fp_ieee_underflow 0
		.amdhsa_exception_fp_ieee_inexact 0
		.amdhsa_exception_int_div_zero 0
	.end_amdhsa_kernel
	.section	.text._ZN2at6native12_GLOBAL__N_125multi_tensor_apply_kernelINS1_28TensorListScalarListMetadataIN3c107complexIdEELi3EEENS1_26TernaryOpScalarListFunctorIS6_Li3ELi2ELi2EEEJNS0_11LerpFunctorIS6_EEEEEvT_T0_DpT1_,"axG",@progbits,_ZN2at6native12_GLOBAL__N_125multi_tensor_apply_kernelINS1_28TensorListScalarListMetadataIN3c107complexIdEELi3EEENS1_26TernaryOpScalarListFunctorIS6_Li3ELi2ELi2EEEJNS0_11LerpFunctorIS6_EEEEEvT_T0_DpT1_,comdat
.Lfunc_end26:
	.size	_ZN2at6native12_GLOBAL__N_125multi_tensor_apply_kernelINS1_28TensorListScalarListMetadataIN3c107complexIdEELi3EEENS1_26TernaryOpScalarListFunctorIS6_Li3ELi2ELi2EEEJNS0_11LerpFunctorIS6_EEEEEvT_T0_DpT1_, .Lfunc_end26-_ZN2at6native12_GLOBAL__N_125multi_tensor_apply_kernelINS1_28TensorListScalarListMetadataIN3c107complexIdEELi3EEENS1_26TernaryOpScalarListFunctorIS6_Li3ELi2ELi2EEEJNS0_11LerpFunctorIS6_EEEEEvT_T0_DpT1_
                                        ; -- End function
	.set _ZN2at6native12_GLOBAL__N_125multi_tensor_apply_kernelINS1_28TensorListScalarListMetadataIN3c107complexIdEELi3EEENS1_26TernaryOpScalarListFunctorIS6_Li3ELi2ELi2EEEJNS0_11LerpFunctorIS6_EEEEEvT_T0_DpT1_.num_vgpr, 53
	.set _ZN2at6native12_GLOBAL__N_125multi_tensor_apply_kernelINS1_28TensorListScalarListMetadataIN3c107complexIdEELi3EEENS1_26TernaryOpScalarListFunctorIS6_Li3ELi2ELi2EEEJNS0_11LerpFunctorIS6_EEEEEvT_T0_DpT1_.num_agpr, 0
	.set _ZN2at6native12_GLOBAL__N_125multi_tensor_apply_kernelINS1_28TensorListScalarListMetadataIN3c107complexIdEELi3EEENS1_26TernaryOpScalarListFunctorIS6_Li3ELi2ELi2EEEJNS0_11LerpFunctorIS6_EEEEEvT_T0_DpT1_.numbered_sgpr, 35
	.set _ZN2at6native12_GLOBAL__N_125multi_tensor_apply_kernelINS1_28TensorListScalarListMetadataIN3c107complexIdEELi3EEENS1_26TernaryOpScalarListFunctorIS6_Li3ELi2ELi2EEEJNS0_11LerpFunctorIS6_EEEEEvT_T0_DpT1_.num_named_barrier, 0
	.set _ZN2at6native12_GLOBAL__N_125multi_tensor_apply_kernelINS1_28TensorListScalarListMetadataIN3c107complexIdEELi3EEENS1_26TernaryOpScalarListFunctorIS6_Li3ELi2ELi2EEEJNS0_11LerpFunctorIS6_EEEEEvT_T0_DpT1_.private_seg_size, 0
	.set _ZN2at6native12_GLOBAL__N_125multi_tensor_apply_kernelINS1_28TensorListScalarListMetadataIN3c107complexIdEELi3EEENS1_26TernaryOpScalarListFunctorIS6_Li3ELi2ELi2EEEJNS0_11LerpFunctorIS6_EEEEEvT_T0_DpT1_.uses_vcc, 1
	.set _ZN2at6native12_GLOBAL__N_125multi_tensor_apply_kernelINS1_28TensorListScalarListMetadataIN3c107complexIdEELi3EEENS1_26TernaryOpScalarListFunctorIS6_Li3ELi2ELi2EEEJNS0_11LerpFunctorIS6_EEEEEvT_T0_DpT1_.uses_flat_scratch, 0
	.set _ZN2at6native12_GLOBAL__N_125multi_tensor_apply_kernelINS1_28TensorListScalarListMetadataIN3c107complexIdEELi3EEENS1_26TernaryOpScalarListFunctorIS6_Li3ELi2ELi2EEEJNS0_11LerpFunctorIS6_EEEEEvT_T0_DpT1_.has_dyn_sized_stack, 0
	.set _ZN2at6native12_GLOBAL__N_125multi_tensor_apply_kernelINS1_28TensorListScalarListMetadataIN3c107complexIdEELi3EEENS1_26TernaryOpScalarListFunctorIS6_Li3ELi2ELi2EEEJNS0_11LerpFunctorIS6_EEEEEvT_T0_DpT1_.has_recursion, 0
	.set _ZN2at6native12_GLOBAL__N_125multi_tensor_apply_kernelINS1_28TensorListScalarListMetadataIN3c107complexIdEELi3EEENS1_26TernaryOpScalarListFunctorIS6_Li3ELi2ELi2EEEJNS0_11LerpFunctorIS6_EEEEEvT_T0_DpT1_.has_indirect_call, 0
	.section	.AMDGPU.csdata,"",@progbits
; Kernel info:
; codeLenInByte = 2580
; TotalNumSgprs: 39
; NumVgprs: 53
; ScratchSize: 0
; MemoryBound: 1
; FloatMode: 240
; IeeeMode: 1
; LDSByteSize: 0 bytes/workgroup (compile time only)
; SGPRBlocks: 4
; VGPRBlocks: 13
; NumSGPRsForWavesPerEU: 39
; NumVGPRsForWavesPerEU: 53
; Occupancy: 4
; WaveLimiterHint : 0
; COMPUTE_PGM_RSRC2:SCRATCH_EN: 0
; COMPUTE_PGM_RSRC2:USER_SGPR: 6
; COMPUTE_PGM_RSRC2:TRAP_HANDLER: 0
; COMPUTE_PGM_RSRC2:TGID_X_EN: 1
; COMPUTE_PGM_RSRC2:TGID_Y_EN: 0
; COMPUTE_PGM_RSRC2:TGID_Z_EN: 0
; COMPUTE_PGM_RSRC2:TIDIG_COMP_CNT: 0
	.section	.text._ZN2at6native12_GLOBAL__N_125multi_tensor_apply_kernelINS1_28TensorListScalarListMetadataIN3c107complexIfEELi3EEENS1_26TernaryOpScalarListFunctorIS6_Li3ELi2ELi2EEEJNS0_11LerpFunctorIS6_EEEEEvT_T0_DpT1_,"axG",@progbits,_ZN2at6native12_GLOBAL__N_125multi_tensor_apply_kernelINS1_28TensorListScalarListMetadataIN3c107complexIfEELi3EEENS1_26TernaryOpScalarListFunctorIS6_Li3ELi2ELi2EEEJNS0_11LerpFunctorIS6_EEEEEvT_T0_DpT1_,comdat
	.globl	_ZN2at6native12_GLOBAL__N_125multi_tensor_apply_kernelINS1_28TensorListScalarListMetadataIN3c107complexIfEELi3EEENS1_26TernaryOpScalarListFunctorIS6_Li3ELi2ELi2EEEJNS0_11LerpFunctorIS6_EEEEEvT_T0_DpT1_ ; -- Begin function _ZN2at6native12_GLOBAL__N_125multi_tensor_apply_kernelINS1_28TensorListScalarListMetadataIN3c107complexIfEELi3EEENS1_26TernaryOpScalarListFunctorIS6_Li3ELi2ELi2EEEJNS0_11LerpFunctorIS6_EEEEEvT_T0_DpT1_
	.p2align	8
	.type	_ZN2at6native12_GLOBAL__N_125multi_tensor_apply_kernelINS1_28TensorListScalarListMetadataIN3c107complexIfEELi3EEENS1_26TernaryOpScalarListFunctorIS6_Li3ELi2ELi2EEEJNS0_11LerpFunctorIS6_EEEEEvT_T0_DpT1_,@function
_ZN2at6native12_GLOBAL__N_125multi_tensor_apply_kernelINS1_28TensorListScalarListMetadataIN3c107complexIfEELi3EEENS1_26TernaryOpScalarListFunctorIS6_Li3ELi2ELi2EEEJNS0_11LerpFunctorIS6_EEEEEvT_T0_DpT1_: ; @_ZN2at6native12_GLOBAL__N_125multi_tensor_apply_kernelINS1_28TensorListScalarListMetadataIN3c107complexIfEELi3EEENS1_26TernaryOpScalarListFunctorIS6_Li3ELi2ELi2EEEJNS0_11LerpFunctorIS6_EEEEEvT_T0_DpT1_
; %bb.0:
	v_mov_b32_e32 v1, s6
	global_load_ubyte v1, v1, s[4:5] offset:1920
	s_add_u32 s0, s4, s6
	s_mul_hi_u32 s3, s6, 3
	s_mul_i32 s6, s6, 3
	s_addc_u32 s7, s5, 0
	s_add_u32 s2, s0, s6
	s_addc_u32 s3, s7, s3
	s_load_dword s2, s[2:3], 0x8c0
	s_mov_b32 s1, 0
	s_mov_b32 s9, s1
	s_waitcnt lgkmcnt(0)
	s_ashr_i32 s3, s2, 31
	s_lshl_b64 s[20:21], s[2:3], 19
	s_waitcnt vmcnt(0)
	v_readfirstlane_b32 s0, v1
	s_lshl_b32 s0, s0, 3
	s_load_dwordx2 s[12:13], s[4:5], s0 offset:0x600
	s_load_dwordx2 s[6:7], s[4:5], s0 offset:0x0
	;; [unrolled: 1-line block ×5, first 2 shown]
	s_waitcnt lgkmcnt(0)
	s_add_u32 s14, s6, s20
	s_addc_u32 s15, s7, s21
	s_add_u32 s16, s16, s20
	s_addc_u32 s17, s17, s21
	;; [unrolled: 2-line block ×3, first 2 shown]
	s_or_b32 s6, s18, s16
	s_lshl_b64 s[2:3], s[2:3], 16
	s_and_b32 s0, s14, 31
	s_and_b32 s6, s6, 31
	s_cmp_lg_u32 s6, 0
	s_cselect_b64 s[20:21], -1, 0
	s_sub_u32 s6, s10, s2
	s_subb_u32 s7, s11, s3
	s_and_b32 s8, s10, 3
	s_or_b64 s[0:1], s[0:1], s[8:9]
	s_cmp_lg_u64 s[0:1], 0
	s_cselect_b64 s[0:1], -1, 0
	s_or_b64 s[0:1], s[20:21], s[0:1]
	s_andn2_b64 vcc, exec, s[0:1]
	s_mov_b64 s[0:1], -1
	s_cbranch_vccz .LBB27_21
; %bb.1:
	v_mov_b32_e32 v1, 0x10000
	v_mov_b32_e32 v2, 0
	v_cmp_lt_i64_e32 vcc, s[6:7], v[1:2]
	v_mov_b32_e32 v2, 0
	s_and_b64 s[0:1], vcc, exec
	s_cselect_b32 s9, s7, 0
	s_cselect_b32 s8, s6, 0x10000
	v_lshlrev_b32_e32 v1, 2, v0
	v_cmp_gt_i64_e32 vcc, s[8:9], v[1:2]
	s_and_saveexec_b64 s[10:11], vcc
	s_cbranch_execz .LBB27_20
; %bb.2:
	s_load_dword s2, s[4:5], 0xdd4
	v_mov_b32_e32 v1, v2
	v_mul_f32_e64 v2, s13, s13
	v_fmac_f32_e64 v2, s12, s12
	s_mov_b32 s0, 0x3e800000
	s_waitcnt lgkmcnt(0)
	s_and_b32 s30, s2, 0xffff
	v_mov_b32_e32 v22, v1
	v_cmp_ngt_f32_e64 s[0:1], s0, v2
	v_sub_f32_e64 v23, 1.0, s12
	v_sub_f32_e64 v24, 0, s13
	v_lshlrev_b32_e32 v25, 5, v0
	s_lshl_b32 s31, s30, 5
	s_mov_b64 s[20:21], 0
	s_mov_b64 s[22:23], s[16:17]
	s_mov_b64 s[24:25], s[14:15]
	s_mov_b64 s[26:27], s[18:19]
	v_mov_b32_e32 v21, v0
	s_branch .LBB27_4
.LBB27_3:                               ;   in Loop: Header=BB27_4 Depth=1
	v_mov_b32_e32 v2, s27
	v_add_co_u32_e32 v1, vcc, s26, v25
	v_addc_co_u32_e32 v2, vcc, 0, v2, vcc
	v_add_co_u32_e32 v21, vcc, s30, v21
	s_add_u32 s26, s26, s31
	v_addc_co_u32_e32 v22, vcc, 0, v22, vcc
	s_addc_u32 s27, s27, 0
	v_lshlrev_b64 v[3:4], 2, v[21:22]
	s_add_u32 s24, s24, s31
	s_addc_u32 s25, s25, 0
	s_add_u32 s22, s22, s31
	v_cmp_le_i64_e32 vcc, s[8:9], v[3:4]
	s_addc_u32 s23, s23, 0
	s_or_b64 s[20:21], vcc, s[20:21]
	global_store_dwordx4 v[1:2], v[5:8], off
	global_store_dwordx4 v[1:2], v[13:16], off offset:16
	s_andn2_b64 exec, exec, s[20:21]
	s_cbranch_execz .LBB27_20
.LBB27_4:                               ; =>This Inner Loop Header: Depth=1
	v_mov_b32_e32 v1, s25
	v_add_co_u32_e32 v5, vcc, s24, v25
	v_addc_co_u32_e32 v6, vcc, 0, v1, vcc
	v_mov_b32_e32 v1, s23
	v_add_co_u32_e32 v7, vcc, s22, v25
	v_addc_co_u32_e32 v8, vcc, 0, v1, vcc
	global_load_dwordx4 v[17:20], v[7:8], off
	global_load_dwordx4 v[13:16], v[5:6], off
	global_load_dwordx4 v[1:4], v[5:6], off offset:16
	global_load_dwordx4 v[9:12], v[7:8], off offset:16
	s_mov_b64 s[2:3], -1
	s_and_b64 vcc, exec, s[0:1]
                                        ; implicit-def: $vgpr6
	s_waitcnt vmcnt(2)
	v_sub_f32_e32 v7, v17, v13
	v_sub_f32_e32 v8, v18, v14
	s_cbranch_vccz .LBB27_6
; %bb.5:                                ;   in Loop: Header=BB27_4 Depth=1
	v_mul_f32_e32 v5, v24, v8
	v_mul_f32_e32 v6, v23, v8
	v_fma_f32 v5, v23, v7, -v5
	v_fmac_f32_e32 v6, v24, v7
	v_sub_f32_e32 v5, v17, v5
	v_sub_f32_e32 v6, v18, v6
	s_mov_b64 s[2:3], 0
.LBB27_6:                               ;   in Loop: Header=BB27_4 Depth=1
	s_andn2_b64 vcc, exec, s[2:3]
	s_cbranch_vccnz .LBB27_8
; %bb.7:                                ;   in Loop: Header=BB27_4 Depth=1
	v_mul_f32_e32 v5, s13, v8
	v_mul_f32_e32 v6, s12, v8
	v_fma_f32 v5, v7, s12, -v5
	v_fmac_f32_e32 v6, s13, v7
	v_add_f32_e32 v5, v13, v5
	v_add_f32_e32 v6, v14, v6
.LBB27_8:                               ;   in Loop: Header=BB27_4 Depth=1
	v_cndmask_b32_e64 v7, 0, 1, s[0:1]
	v_sub_f32_e32 v13, v19, v15
	v_sub_f32_e32 v14, v20, v16
	v_cmp_ne_u32_e64 s[2:3], 1, v7
	s_andn2_b64 vcc, exec, s[0:1]
	s_mov_b64 s[28:29], -1
	s_cbranch_vccnz .LBB27_10
; %bb.9:                                ;   in Loop: Header=BB27_4 Depth=1
	v_mul_f32_e32 v7, v24, v14
	v_mul_f32_e32 v8, v23, v14
	v_fma_f32 v7, v23, v13, -v7
	v_fmac_f32_e32 v8, v24, v13
	v_sub_f32_e32 v7, v19, v7
	v_sub_f32_e32 v8, v20, v8
	s_mov_b64 s[28:29], 0
.LBB27_10:                              ;   in Loop: Header=BB27_4 Depth=1
	s_andn2_b64 vcc, exec, s[28:29]
	s_cbranch_vccnz .LBB27_12
; %bb.11:                               ;   in Loop: Header=BB27_4 Depth=1
	v_mul_f32_e32 v7, s13, v14
	v_mul_f32_e32 v8, s12, v14
	v_fma_f32 v7, v13, s12, -v7
	v_fmac_f32_e32 v8, s13, v13
	v_add_f32_e32 v7, v15, v7
	v_add_f32_e32 v8, v16, v8
.LBB27_12:                              ;   in Loop: Header=BB27_4 Depth=1
	s_waitcnt vmcnt(0)
	v_sub_f32_e32 v15, v9, v1
	v_sub_f32_e32 v16, v10, v2
	s_and_b64 vcc, exec, s[2:3]
	s_mov_b64 s[28:29], -1
                                        ; implicit-def: $vgpr14
	s_cbranch_vccnz .LBB27_14
; %bb.13:                               ;   in Loop: Header=BB27_4 Depth=1
	v_mul_f32_e32 v13, v24, v16
	v_mul_f32_e32 v14, v23, v16
	v_fma_f32 v13, v23, v15, -v13
	v_fmac_f32_e32 v14, v24, v15
	v_sub_f32_e32 v13, v9, v13
	v_sub_f32_e32 v14, v10, v14
	s_mov_b64 s[28:29], 0
.LBB27_14:                              ;   in Loop: Header=BB27_4 Depth=1
	s_andn2_b64 vcc, exec, s[28:29]
	s_cbranch_vccnz .LBB27_16
; %bb.15:                               ;   in Loop: Header=BB27_4 Depth=1
	v_mul_f32_e32 v9, s13, v16
	v_mul_f32_e32 v10, s12, v16
	v_fma_f32 v9, v15, s12, -v9
	v_fmac_f32_e32 v10, s13, v15
	v_add_f32_e32 v13, v1, v9
	v_add_f32_e32 v14, v2, v10
.LBB27_16:                              ;   in Loop: Header=BB27_4 Depth=1
	v_sub_f32_e32 v1, v11, v3
	v_sub_f32_e32 v2, v12, v4
	s_and_b64 vcc, exec, s[2:3]
	s_mov_b64 s[2:3], -1
	s_cbranch_vccnz .LBB27_18
; %bb.17:                               ;   in Loop: Header=BB27_4 Depth=1
	v_mul_f32_e32 v9, v24, v2
	v_mul_f32_e32 v10, v23, v2
	v_fma_f32 v9, v23, v1, -v9
	v_fmac_f32_e32 v10, v24, v1
	v_sub_f32_e32 v15, v11, v9
	v_sub_f32_e32 v16, v12, v10
	s_mov_b64 s[2:3], 0
.LBB27_18:                              ;   in Loop: Header=BB27_4 Depth=1
	s_andn2_b64 vcc, exec, s[2:3]
	s_cbranch_vccnz .LBB27_3
; %bb.19:                               ;   in Loop: Header=BB27_4 Depth=1
	v_mul_f32_e32 v9, s13, v2
	v_mul_f32_e32 v2, s12, v2
	v_fma_f32 v9, v1, s12, -v9
	v_fmac_f32_e32 v2, s13, v1
	v_add_f32_e32 v15, v3, v9
	v_add_f32_e32 v16, v4, v2
	s_branch .LBB27_3
.LBB27_20:
	s_or_b64 exec, exec, s[10:11]
	s_mov_b64 s[0:1], 0
.LBB27_21:
	s_andn2_b64 vcc, exec, s[0:1]
	s_cbranch_vccnz .LBB27_57
; %bb.22:
	v_cmp_lt_i64_e64 s[0:1], s[6:7], 1
	s_and_b64 vcc, exec, s[0:1]
	s_cbranch_vccnz .LBB27_57
; %bb.23:
	v_mov_b32_e32 v1, 0x10000
	s_load_dword s2, s[4:5], 0xdd4
	v_mov_b32_e32 v2, 0
	v_cmp_lt_i64_e32 vcc, s[6:7], v[1:2]
	v_sub_f32_e64 v27, 1.0, s12
	s_and_b64 s[0:1], vcc, exec
	v_cmp_lt_u64_e32 vcc, s[6:7], v[1:2]
	s_cselect_b32 s21, s7, 0
	s_cselect_b32 s20, s6, 0x10000
	s_waitcnt lgkmcnt(0)
	s_and_b32 s28, s2, 0xffff
	s_and_b64 s[0:1], vcc, exec
	v_mul_f32_e64 v1, s13, s13
	v_fmac_f32_e64 v1, s12, s12
	s_mov_b32 s0, 0x3e800000
	s_cselect_b32 s23, s7, 0
	s_cselect_b32 s22, s6, 0x10000
	s_lshl_b32 s29, s28, 1
	s_mul_i32 s30, s28, 3
	v_cmp_ngt_f32_e64 s[0:1], s0, v1
	v_sub_f32_e64 v28, 0, s13
	s_lshl_b32 s31, s28, 2
	s_mov_b64 s[24:25], 0
	s_branch .LBB27_25
.LBB27_24:                              ;   in Loop: Header=BB27_25 Depth=1
	s_or_b64 exec, exec, s[2:3]
	s_add_u32 s24, s24, s31
	v_mov_b32_e32 v1, s20
	s_addc_u32 s25, s25, 0
	v_mov_b32_e32 v2, s21
	v_cmp_ge_i64_e32 vcc, s[24:25], v[1:2]
	s_cbranch_vccnz .LBB27_57
.LBB27_25:                              ; =>This Inner Loop Header: Depth=1
	v_mov_b32_e32 v2, s25
	v_add_co_u32_e32 v1, vcc, s24, v0
	v_addc_co_u32_e32 v2, vcc, 0, v2, vcc
	v_cmp_gt_u64_e64 s[2:3], s[22:23], v[1:2]
	v_mov_b32_e32 v26, 0
	v_mov_b32_e32 v25, 0
	;; [unrolled: 1-line block ×4, first 2 shown]
	s_and_saveexec_b64 s[4:5], s[2:3]
	s_cbranch_execz .LBB27_27
; %bb.26:                               ;   in Loop: Header=BB27_25 Depth=1
	v_lshlrev_b64 v[3:4], 3, v[1:2]
	v_mov_b32_e32 v6, s17
	v_add_co_u32_e32 v5, vcc, s16, v3
	v_addc_co_u32_e32 v6, vcc, v6, v4, vcc
	v_mov_b32_e32 v7, s15
	v_add_co_u32_e32 v3, vcc, s14, v3
	v_addc_co_u32_e32 v4, vcc, v7, v4, vcc
	global_load_dwordx2 v[17:18], v[3:4], off
	global_load_dwordx2 v[25:26], v[5:6], off
.LBB27_27:                              ;   in Loop: Header=BB27_25 Depth=1
	s_or_b64 exec, exec, s[4:5]
	v_add_co_u32_e32 v3, vcc, s28, v1
	v_addc_co_u32_e32 v4, vcc, 0, v2, vcc
	v_cmp_gt_u64_e64 s[4:5], s[22:23], v[3:4]
	v_mov_b32_e32 v10, 0
	v_mov_b32_e32 v22, 0
	;; [unrolled: 1-line block ×5, first 2 shown]
	s_and_saveexec_b64 s[6:7], s[4:5]
	s_cbranch_execz .LBB27_29
; %bb.28:                               ;   in Loop: Header=BB27_25 Depth=1
	v_lshlrev_b64 v[5:6], 3, v[3:4]
	v_mov_b32_e32 v8, s17
	v_add_co_u32_e32 v7, vcc, s16, v5
	v_addc_co_u32_e32 v8, vcc, v8, v6, vcc
	v_mov_b32_e32 v9, s15
	v_add_co_u32_e32 v5, vcc, s14, v5
	v_addc_co_u32_e32 v6, vcc, v9, v6, vcc
	global_load_dwordx2 v[11:12], v[5:6], off
	global_load_dwordx2 v[21:22], v[7:8], off
.LBB27_29:                              ;   in Loop: Header=BB27_25 Depth=1
	s_or_b64 exec, exec, s[6:7]
	v_add_co_u32_e32 v5, vcc, s29, v1
	v_addc_co_u32_e32 v6, vcc, 0, v2, vcc
	v_cmp_gt_u64_e64 s[6:7], s[22:23], v[5:6]
	v_mov_b32_e32 v9, 0
	v_mov_b32_e32 v14, 0
	;; [unrolled: 1-line block ×3, first 2 shown]
	s_and_saveexec_b64 s[8:9], s[6:7]
	s_cbranch_execz .LBB27_31
; %bb.30:                               ;   in Loop: Header=BB27_25 Depth=1
	v_lshlrev_b64 v[7:8], 3, v[5:6]
	v_mov_b32_e32 v9, s17
	v_add_co_u32_e32 v15, vcc, s16, v7
	v_addc_co_u32_e32 v16, vcc, v9, v8, vcc
	v_mov_b32_e32 v9, s15
	v_add_co_u32_e32 v7, vcc, s14, v7
	v_addc_co_u32_e32 v8, vcc, v9, v8, vcc
	global_load_dwordx2 v[13:14], v[7:8], off
	global_load_dwordx2 v[9:10], v[15:16], off
.LBB27_31:                              ;   in Loop: Header=BB27_25 Depth=1
	s_or_b64 exec, exec, s[8:9]
	v_add_co_u32_e32 v7, vcc, s30, v1
	v_addc_co_u32_e32 v8, vcc, 0, v2, vcc
	v_cmp_gt_u64_e64 s[8:9], s[22:23], v[7:8]
	v_mov_b32_e32 v24, 0
	v_mov_b32_e32 v23, 0
	v_mov_b32_e32 v16, 0
	v_mov_b32_e32 v15, 0
	s_and_saveexec_b64 s[10:11], s[8:9]
	s_cbranch_execz .LBB27_33
; %bb.32:                               ;   in Loop: Header=BB27_25 Depth=1
	v_lshlrev_b64 v[15:16], 3, v[7:8]
	v_mov_b32_e32 v20, s17
	v_add_co_u32_e32 v19, vcc, s16, v15
	v_addc_co_u32_e32 v20, vcc, v20, v16, vcc
	v_mov_b32_e32 v23, s15
	v_add_co_u32_e32 v29, vcc, s14, v15
	v_addc_co_u32_e32 v30, vcc, v23, v16, vcc
	global_load_dwordx2 v[15:16], v[29:30], off
	global_load_dwordx2 v[23:24], v[19:20], off
.LBB27_33:                              ;   in Loop: Header=BB27_25 Depth=1
	s_or_b64 exec, exec, s[10:11]
	s_waitcnt vmcnt(0)
	v_sub_f32_e32 v30, v25, v17
	v_sub_f32_e32 v29, v26, v18
	s_mov_b64 s[10:11], -1
	s_and_b64 vcc, exec, s[0:1]
                                        ; implicit-def: $vgpr20
	s_cbranch_vccz .LBB27_35
; %bb.34:                               ;   in Loop: Header=BB27_25 Depth=1
	v_mul_f32_e32 v19, v28, v29
	v_mul_f32_e32 v20, v28, v30
	v_fma_f32 v19, v27, v30, -v19
	v_fmac_f32_e32 v20, v27, v29
	v_sub_f32_e32 v19, v25, v19
	v_sub_f32_e32 v20, v26, v20
	s_mov_b64 s[10:11], 0
.LBB27_35:                              ;   in Loop: Header=BB27_25 Depth=1
	s_andn2_b64 vcc, exec, s[10:11]
	s_cbranch_vccnz .LBB27_37
; %bb.36:                               ;   in Loop: Header=BB27_25 Depth=1
	v_mul_f32_e32 v19, s13, v29
	v_mul_f32_e32 v20, s13, v30
	v_fma_f32 v19, v30, s12, -v19
	v_fmac_f32_e32 v20, s12, v29
	v_add_f32_e32 v19, v17, v19
	v_add_f32_e32 v20, v18, v20
.LBB27_37:                              ;   in Loop: Header=BB27_25 Depth=1
	v_cndmask_b32_e64 v17, 0, 1, s[0:1]
	v_sub_f32_e32 v26, v21, v11
	v_sub_f32_e32 v25, v22, v12
	v_cmp_ne_u32_e64 s[10:11], 1, v17
	s_andn2_b64 vcc, exec, s[0:1]
	s_mov_b64 s[26:27], -1
                                        ; implicit-def: $vgpr18
	s_cbranch_vccnz .LBB27_39
; %bb.38:                               ;   in Loop: Header=BB27_25 Depth=1
	v_mul_f32_e32 v17, v28, v25
	v_mul_f32_e32 v18, v28, v26
	v_fma_f32 v17, v27, v26, -v17
	v_fmac_f32_e32 v18, v27, v25
	v_sub_f32_e32 v17, v21, v17
	v_sub_f32_e32 v18, v22, v18
	s_mov_b64 s[26:27], 0
.LBB27_39:                              ;   in Loop: Header=BB27_25 Depth=1
	s_andn2_b64 vcc, exec, s[26:27]
	s_cbranch_vccnz .LBB27_41
; %bb.40:                               ;   in Loop: Header=BB27_25 Depth=1
	v_mul_f32_e32 v17, s13, v25
	v_mul_f32_e32 v18, s13, v26
	v_fma_f32 v17, v26, s12, -v17
	v_fmac_f32_e32 v18, s12, v25
	v_add_f32_e32 v17, v11, v17
	v_add_f32_e32 v18, v12, v18
.LBB27_41:                              ;   in Loop: Header=BB27_25 Depth=1
	v_sub_f32_e32 v22, v9, v13
	v_sub_f32_e32 v21, v10, v14
	s_and_b64 vcc, exec, s[10:11]
	s_mov_b64 s[26:27], -1
                                        ; implicit-def: $vgpr12
	s_cbranch_vccnz .LBB27_43
; %bb.42:                               ;   in Loop: Header=BB27_25 Depth=1
	v_mul_f32_e32 v11, v28, v21
	v_mul_f32_e32 v12, v28, v22
	v_fma_f32 v11, v27, v22, -v11
	v_fmac_f32_e32 v12, v27, v21
	v_sub_f32_e32 v11, v9, v11
	v_sub_f32_e32 v12, v10, v12
	s_mov_b64 s[26:27], 0
.LBB27_43:                              ;   in Loop: Header=BB27_25 Depth=1
	s_andn2_b64 vcc, exec, s[26:27]
	s_cbranch_vccnz .LBB27_45
; %bb.44:                               ;   in Loop: Header=BB27_25 Depth=1
	v_mul_f32_e32 v9, s13, v21
	v_mul_f32_e32 v10, s13, v22
	v_fma_f32 v9, v22, s12, -v9
	v_fmac_f32_e32 v10, s12, v21
	v_add_f32_e32 v11, v13, v9
	v_add_f32_e32 v12, v14, v10
.LBB27_45:                              ;   in Loop: Header=BB27_25 Depth=1
	v_sub_f32_e32 v14, v23, v15
	v_sub_f32_e32 v13, v24, v16
	s_and_b64 vcc, exec, s[10:11]
	s_mov_b64 s[10:11], -1
                                        ; implicit-def: $vgpr10
	s_cbranch_vccz .LBB27_51
; %bb.46:                               ;   in Loop: Header=BB27_25 Depth=1
	s_andn2_b64 vcc, exec, s[10:11]
	s_cbranch_vccz .LBB27_52
.LBB27_47:                              ;   in Loop: Header=BB27_25 Depth=1
	s_and_saveexec_b64 s[10:11], s[2:3]
	s_xor_b64 s[2:3], exec, s[10:11]
	s_cbranch_execnz .LBB27_53
.LBB27_48:                              ;   in Loop: Header=BB27_25 Depth=1
	s_or_b64 exec, exec, s[2:3]
	s_and_saveexec_b64 s[2:3], s[4:5]
	s_cbranch_execnz .LBB27_54
.LBB27_49:                              ;   in Loop: Header=BB27_25 Depth=1
	s_or_b64 exec, exec, s[2:3]
	s_and_saveexec_b64 s[2:3], s[6:7]
	s_cbranch_execnz .LBB27_55
.LBB27_50:                              ;   in Loop: Header=BB27_25 Depth=1
	s_or_b64 exec, exec, s[2:3]
	s_and_saveexec_b64 s[2:3], s[8:9]
	s_cbranch_execz .LBB27_24
	s_branch .LBB27_56
.LBB27_51:                              ;   in Loop: Header=BB27_25 Depth=1
	v_mul_f32_e32 v9, v28, v13
	v_mul_f32_e32 v10, v28, v14
	v_fma_f32 v9, v27, v14, -v9
	v_fmac_f32_e32 v10, v27, v13
	v_sub_f32_e32 v9, v23, v9
	v_sub_f32_e32 v10, v24, v10
	s_cbranch_execnz .LBB27_47
.LBB27_52:                              ;   in Loop: Header=BB27_25 Depth=1
	v_mul_f32_e32 v9, s13, v13
	v_mul_f32_e32 v10, s13, v14
	v_fma_f32 v9, v14, s12, -v9
	v_fmac_f32_e32 v10, s12, v13
	v_add_f32_e32 v9, v15, v9
	v_add_f32_e32 v10, v16, v10
	s_and_saveexec_b64 s[10:11], s[2:3]
	s_xor_b64 s[2:3], exec, s[10:11]
	s_cbranch_execz .LBB27_48
.LBB27_53:                              ;   in Loop: Header=BB27_25 Depth=1
	v_lshlrev_b64 v[1:2], 3, v[1:2]
	v_mov_b32_e32 v13, s19
	v_add_co_u32_e32 v1, vcc, s18, v1
	v_addc_co_u32_e32 v2, vcc, v13, v2, vcc
	global_store_dwordx2 v[1:2], v[19:20], off
	s_or_b64 exec, exec, s[2:3]
	s_and_saveexec_b64 s[2:3], s[4:5]
	s_cbranch_execz .LBB27_49
.LBB27_54:                              ;   in Loop: Header=BB27_25 Depth=1
	v_lshlrev_b64 v[1:2], 3, v[3:4]
	v_mov_b32_e32 v3, s19
	v_add_co_u32_e32 v1, vcc, s18, v1
	v_addc_co_u32_e32 v2, vcc, v3, v2, vcc
	global_store_dwordx2 v[1:2], v[17:18], off
	s_or_b64 exec, exec, s[2:3]
	s_and_saveexec_b64 s[2:3], s[6:7]
	s_cbranch_execz .LBB27_50
.LBB27_55:                              ;   in Loop: Header=BB27_25 Depth=1
	v_lshlrev_b64 v[1:2], 3, v[5:6]
	v_mov_b32_e32 v3, s19
	v_add_co_u32_e32 v1, vcc, s18, v1
	v_addc_co_u32_e32 v2, vcc, v3, v2, vcc
	global_store_dwordx2 v[1:2], v[11:12], off
	s_or_b64 exec, exec, s[2:3]
	s_and_saveexec_b64 s[2:3], s[8:9]
	s_cbranch_execz .LBB27_24
.LBB27_56:                              ;   in Loop: Header=BB27_25 Depth=1
	v_lshlrev_b64 v[1:2], 3, v[7:8]
	v_mov_b32_e32 v3, s19
	v_add_co_u32_e32 v1, vcc, s18, v1
	v_addc_co_u32_e32 v2, vcc, v3, v2, vcc
	global_store_dwordx2 v[1:2], v[9:10], off
	s_branch .LBB27_24
.LBB27_57:
	s_endpgm
	.section	.rodata,"a",@progbits
	.p2align	6, 0x0
	.amdhsa_kernel _ZN2at6native12_GLOBAL__N_125multi_tensor_apply_kernelINS1_28TensorListScalarListMetadataIN3c107complexIfEELi3EEENS1_26TernaryOpScalarListFunctorIS6_Li3ELi2ELi2EEEJNS0_11LerpFunctorIS6_EEEEEvT_T0_DpT1_
		.amdhsa_group_segment_fixed_size 0
		.amdhsa_private_segment_fixed_size 0
		.amdhsa_kernarg_size 3784
		.amdhsa_user_sgpr_count 6
		.amdhsa_user_sgpr_private_segment_buffer 1
		.amdhsa_user_sgpr_dispatch_ptr 0
		.amdhsa_user_sgpr_queue_ptr 0
		.amdhsa_user_sgpr_kernarg_segment_ptr 1
		.amdhsa_user_sgpr_dispatch_id 0
		.amdhsa_user_sgpr_flat_scratch_init 0
		.amdhsa_user_sgpr_private_segment_size 0
		.amdhsa_uses_dynamic_stack 0
		.amdhsa_system_sgpr_private_segment_wavefront_offset 0
		.amdhsa_system_sgpr_workgroup_id_x 1
		.amdhsa_system_sgpr_workgroup_id_y 0
		.amdhsa_system_sgpr_workgroup_id_z 0
		.amdhsa_system_sgpr_workgroup_info 0
		.amdhsa_system_vgpr_workitem_id 0
		.amdhsa_next_free_vgpr 31
		.amdhsa_next_free_sgpr 32
		.amdhsa_reserve_vcc 1
		.amdhsa_reserve_flat_scratch 0
		.amdhsa_float_round_mode_32 0
		.amdhsa_float_round_mode_16_64 0
		.amdhsa_float_denorm_mode_32 3
		.amdhsa_float_denorm_mode_16_64 3
		.amdhsa_dx10_clamp 1
		.amdhsa_ieee_mode 1
		.amdhsa_fp16_overflow 0
		.amdhsa_exception_fp_ieee_invalid_op 0
		.amdhsa_exception_fp_denorm_src 0
		.amdhsa_exception_fp_ieee_div_zero 0
		.amdhsa_exception_fp_ieee_overflow 0
		.amdhsa_exception_fp_ieee_underflow 0
		.amdhsa_exception_fp_ieee_inexact 0
		.amdhsa_exception_int_div_zero 0
	.end_amdhsa_kernel
	.section	.text._ZN2at6native12_GLOBAL__N_125multi_tensor_apply_kernelINS1_28TensorListScalarListMetadataIN3c107complexIfEELi3EEENS1_26TernaryOpScalarListFunctorIS6_Li3ELi2ELi2EEEJNS0_11LerpFunctorIS6_EEEEEvT_T0_DpT1_,"axG",@progbits,_ZN2at6native12_GLOBAL__N_125multi_tensor_apply_kernelINS1_28TensorListScalarListMetadataIN3c107complexIfEELi3EEENS1_26TernaryOpScalarListFunctorIS6_Li3ELi2ELi2EEEJNS0_11LerpFunctorIS6_EEEEEvT_T0_DpT1_,comdat
.Lfunc_end27:
	.size	_ZN2at6native12_GLOBAL__N_125multi_tensor_apply_kernelINS1_28TensorListScalarListMetadataIN3c107complexIfEELi3EEENS1_26TernaryOpScalarListFunctorIS6_Li3ELi2ELi2EEEJNS0_11LerpFunctorIS6_EEEEEvT_T0_DpT1_, .Lfunc_end27-_ZN2at6native12_GLOBAL__N_125multi_tensor_apply_kernelINS1_28TensorListScalarListMetadataIN3c107complexIfEELi3EEENS1_26TernaryOpScalarListFunctorIS6_Li3ELi2ELi2EEEJNS0_11LerpFunctorIS6_EEEEEvT_T0_DpT1_
                                        ; -- End function
	.set _ZN2at6native12_GLOBAL__N_125multi_tensor_apply_kernelINS1_28TensorListScalarListMetadataIN3c107complexIfEELi3EEENS1_26TernaryOpScalarListFunctorIS6_Li3ELi2ELi2EEEJNS0_11LerpFunctorIS6_EEEEEvT_T0_DpT1_.num_vgpr, 31
	.set _ZN2at6native12_GLOBAL__N_125multi_tensor_apply_kernelINS1_28TensorListScalarListMetadataIN3c107complexIfEELi3EEENS1_26TernaryOpScalarListFunctorIS6_Li3ELi2ELi2EEEJNS0_11LerpFunctorIS6_EEEEEvT_T0_DpT1_.num_agpr, 0
	.set _ZN2at6native12_GLOBAL__N_125multi_tensor_apply_kernelINS1_28TensorListScalarListMetadataIN3c107complexIfEELi3EEENS1_26TernaryOpScalarListFunctorIS6_Li3ELi2ELi2EEEJNS0_11LerpFunctorIS6_EEEEEvT_T0_DpT1_.numbered_sgpr, 32
	.set _ZN2at6native12_GLOBAL__N_125multi_tensor_apply_kernelINS1_28TensorListScalarListMetadataIN3c107complexIfEELi3EEENS1_26TernaryOpScalarListFunctorIS6_Li3ELi2ELi2EEEJNS0_11LerpFunctorIS6_EEEEEvT_T0_DpT1_.num_named_barrier, 0
	.set _ZN2at6native12_GLOBAL__N_125multi_tensor_apply_kernelINS1_28TensorListScalarListMetadataIN3c107complexIfEELi3EEENS1_26TernaryOpScalarListFunctorIS6_Li3ELi2ELi2EEEJNS0_11LerpFunctorIS6_EEEEEvT_T0_DpT1_.private_seg_size, 0
	.set _ZN2at6native12_GLOBAL__N_125multi_tensor_apply_kernelINS1_28TensorListScalarListMetadataIN3c107complexIfEELi3EEENS1_26TernaryOpScalarListFunctorIS6_Li3ELi2ELi2EEEJNS0_11LerpFunctorIS6_EEEEEvT_T0_DpT1_.uses_vcc, 1
	.set _ZN2at6native12_GLOBAL__N_125multi_tensor_apply_kernelINS1_28TensorListScalarListMetadataIN3c107complexIfEELi3EEENS1_26TernaryOpScalarListFunctorIS6_Li3ELi2ELi2EEEJNS0_11LerpFunctorIS6_EEEEEvT_T0_DpT1_.uses_flat_scratch, 0
	.set _ZN2at6native12_GLOBAL__N_125multi_tensor_apply_kernelINS1_28TensorListScalarListMetadataIN3c107complexIfEELi3EEENS1_26TernaryOpScalarListFunctorIS6_Li3ELi2ELi2EEEJNS0_11LerpFunctorIS6_EEEEEvT_T0_DpT1_.has_dyn_sized_stack, 0
	.set _ZN2at6native12_GLOBAL__N_125multi_tensor_apply_kernelINS1_28TensorListScalarListMetadataIN3c107complexIfEELi3EEENS1_26TernaryOpScalarListFunctorIS6_Li3ELi2ELi2EEEJNS0_11LerpFunctorIS6_EEEEEvT_T0_DpT1_.has_recursion, 0
	.set _ZN2at6native12_GLOBAL__N_125multi_tensor_apply_kernelINS1_28TensorListScalarListMetadataIN3c107complexIfEELi3EEENS1_26TernaryOpScalarListFunctorIS6_Li3ELi2ELi2EEEJNS0_11LerpFunctorIS6_EEEEEvT_T0_DpT1_.has_indirect_call, 0
	.section	.AMDGPU.csdata,"",@progbits
; Kernel info:
; codeLenInByte = 2052
; TotalNumSgprs: 36
; NumVgprs: 31
; ScratchSize: 0
; MemoryBound: 1
; FloatMode: 240
; IeeeMode: 1
; LDSByteSize: 0 bytes/workgroup (compile time only)
; SGPRBlocks: 4
; VGPRBlocks: 7
; NumSGPRsForWavesPerEU: 36
; NumVGPRsForWavesPerEU: 31
; Occupancy: 8
; WaveLimiterHint : 1
; COMPUTE_PGM_RSRC2:SCRATCH_EN: 0
; COMPUTE_PGM_RSRC2:USER_SGPR: 6
; COMPUTE_PGM_RSRC2:TRAP_HANDLER: 0
; COMPUTE_PGM_RSRC2:TGID_X_EN: 1
; COMPUTE_PGM_RSRC2:TGID_Y_EN: 0
; COMPUTE_PGM_RSRC2:TGID_Z_EN: 0
; COMPUTE_PGM_RSRC2:TIDIG_COMP_CNT: 0
	.section	.text._ZN2at6native12_GLOBAL__N_125multi_tensor_apply_kernelINS1_28TensorListScalarListMetadataIfLi3EEENS1_26TernaryOpScalarListFunctorIN3c104HalfELi3ELi2ELi2EEEJNS0_11LerpFunctorIfEEEEEvT_T0_DpT1_,"axG",@progbits,_ZN2at6native12_GLOBAL__N_125multi_tensor_apply_kernelINS1_28TensorListScalarListMetadataIfLi3EEENS1_26TernaryOpScalarListFunctorIN3c104HalfELi3ELi2ELi2EEEJNS0_11LerpFunctorIfEEEEEvT_T0_DpT1_,comdat
	.globl	_ZN2at6native12_GLOBAL__N_125multi_tensor_apply_kernelINS1_28TensorListScalarListMetadataIfLi3EEENS1_26TernaryOpScalarListFunctorIN3c104HalfELi3ELi2ELi2EEEJNS0_11LerpFunctorIfEEEEEvT_T0_DpT1_ ; -- Begin function _ZN2at6native12_GLOBAL__N_125multi_tensor_apply_kernelINS1_28TensorListScalarListMetadataIfLi3EEENS1_26TernaryOpScalarListFunctorIN3c104HalfELi3ELi2ELi2EEEJNS0_11LerpFunctorIfEEEEEvT_T0_DpT1_
	.p2align	8
	.type	_ZN2at6native12_GLOBAL__N_125multi_tensor_apply_kernelINS1_28TensorListScalarListMetadataIfLi3EEENS1_26TernaryOpScalarListFunctorIN3c104HalfELi3ELi2ELi2EEEJNS0_11LerpFunctorIfEEEEEvT_T0_DpT1_,@function
_ZN2at6native12_GLOBAL__N_125multi_tensor_apply_kernelINS1_28TensorListScalarListMetadataIfLi3EEENS1_26TernaryOpScalarListFunctorIN3c104HalfELi3ELi2ELi2EEEJNS0_11LerpFunctorIfEEEEEvT_T0_DpT1_: ; @_ZN2at6native12_GLOBAL__N_125multi_tensor_apply_kernelINS1_28TensorListScalarListMetadataIfLi3EEENS1_26TernaryOpScalarListFunctorIN3c104HalfELi3ELi2ELi2EEEJNS0_11LerpFunctorIfEEEEEvT_T0_DpT1_
; %bb.0:
	v_mov_b32_e32 v1, s6
	global_load_ubyte v1, v1, s[4:5] offset:1728
	s_add_u32 s0, s4, s6
	s_mul_i32 s1, s6, 3
	s_addc_u32 s2, s5, 0
	s_mul_hi_u32 s3, s6, 3
	s_add_u32 s0, s0, s1
	s_addc_u32 s1, s2, s3
	s_load_dword s0, s[0:1], 0x800
	s_mov_b32 s3, 0
	s_mov_b32 s13, s3
	v_mov_b32_e32 v2, 0
	s_waitcnt lgkmcnt(0)
	s_ashr_i32 s1, s0, 31
	s_waitcnt vmcnt(0)
	v_readfirstlane_b32 s2, v1
	v_lshlrev_b32_e32 v1, 2, v1
	v_sub_co_u32_e32 v1, vcc, 0, v1
	s_lshl_b32 s2, s2, 3
	v_subb_co_u32_e64 v3, s[6:7], 0, 0, vcc
	s_load_dwordx2 s[18:19], s[4:5], s2 offset:0x480
	s_load_dwordx2 s[16:17], s[4:5], s2 offset:0x0
	;; [unrolled: 1-line block ×4, first 2 shown]
	s_add_u32 s12, s4, s2
	s_addc_u32 s2, s5, 0
	s_lshl_b64 s[10:11], s[0:1], 17
	s_waitcnt lgkmcnt(0)
	s_add_u32 s23, s16, s10
	v_mov_b32_e32 v4, s2
	s_addc_u32 s24, s17, s11
	s_and_b32 s2, s23, 7
	s_add_u32 s25, s8, s10
	s_addc_u32 s26, s9, s11
	s_add_u32 s27, s6, s10
	v_add_co_u32_e32 v1, vcc, s12, v1
	s_addc_u32 s28, s7, s11
	s_or_b32 s12, s27, s25
	s_and_b32 s12, s12, 7
	v_addc_co_u32_e32 v3, vcc, v4, v3, vcc
	s_cmp_lg_u32 s12, 0
	v_readfirstlane_b32 s14, v1
	v_readfirstlane_b32 s15, v3
	s_cselect_b64 s[20:21], -1, 0
	s_lshl_b64 s[0:1], s[0:1], 16
	s_load_dword s22, s[14:15], 0x600
	s_sub_u32 s14, s18, s0
	s_subb_u32 s15, s19, s1
	s_and_b32 s12, s18, 3
	s_or_b64 s[0:1], s[2:3], s[12:13]
	s_cmp_lg_u64 s[0:1], 0
	s_cselect_b64 s[0:1], -1, 0
	s_or_b64 s[0:1], s[20:21], s[0:1]
	s_andn2_b64 vcc, exec, s[0:1]
	s_mov_b64 s[0:1], -1
	s_cbranch_vccz .LBB28_5
; %bb.1:
	v_mov_b32_e32 v3, 0x10000
	v_mov_b32_e32 v4, 0
	v_cmp_lt_i64_e32 vcc, s[14:15], v[3:4]
	v_lshlrev_b32_e32 v1, 2, v0
	s_and_b64 s[0:1], vcc, exec
	s_cselect_b32 s13, s15, 0
	s_cselect_b32 s12, s14, 0x10000
	v_cmp_gt_i64_e32 vcc, s[12:13], v[1:2]
	s_and_saveexec_b64 s[18:19], vcc
	s_cbranch_execz .LBB28_4
; %bb.2:
	s_load_dword s0, s[4:5], 0xd14
	v_mov_b32_e32 v1, v2
	v_mov_b32_e32 v2, v1
	s_waitcnt lgkmcnt(0)
	v_cmp_lt_f32_e64 vcc, |s22|, 0.5
	v_sub_f32_e64 v3, 1.0, s22
	s_and_b32 s29, s0, 0xffff
	v_lshlrev_b32_e32 v4, 3, v0
	s_lshl_b32 s30, s29, 3
	s_mov_b64 s[20:21], 0
	v_mov_b32_e32 v1, v0
.LBB28_3:                               ; =>This Inner Loop Header: Depth=1
	v_mov_b32_e32 v6, s24
	v_add_co_u32_e64 v7, s[2:3], s23, v4
	v_mov_b32_e32 v9, s26
	v_add_co_u32_e64 v5, s[0:1], s25, v4
	v_addc_co_u32_e64 v8, s[2:3], 0, v6, s[2:3]
	v_addc_co_u32_e64 v6, s[0:1], 0, v9, s[0:1]
	global_load_dwordx2 v[9:10], v[7:8], off
	global_load_dwordx2 v[11:12], v[5:6], off
	v_add_co_u32_e64 v1, s[2:3], s29, v1
	v_addc_co_u32_e64 v2, s[2:3], 0, v2, s[2:3]
	v_mov_b32_e32 v6, s28
	v_add_co_u32_e64 v5, s[0:1], s27, v4
	v_lshlrev_b64 v[7:8], 2, v[1:2]
	v_addc_co_u32_e64 v6, s[0:1], 0, v6, s[0:1]
	v_cmp_le_i64_e64 s[0:1], s[12:13], v[7:8]
	s_add_u32 s27, s27, s30
	s_addc_u32 s28, s28, 0
	s_add_u32 s23, s23, s30
	s_addc_u32 s24, s24, 0
	s_add_u32 s25, s25, s30
	s_addc_u32 s26, s26, 0
	s_or_b64 s[20:21], s[0:1], s[20:21]
	s_waitcnt vmcnt(1)
	v_cvt_f32_f16_e32 v7, v9
	s_waitcnt vmcnt(0)
	v_cvt_f32_f16_e32 v8, v11
	v_cvt_f32_f16_sdwa v13, v9 dst_sel:DWORD dst_unused:UNUSED_PAD src0_sel:WORD_1
	v_cvt_f32_f16_sdwa v14, v11 dst_sel:DWORD dst_unused:UNUSED_PAD src0_sel:WORD_1
	v_cvt_f32_f16_e32 v15, v10
	v_cvt_f32_f16_e32 v16, v12
	v_cvt_f32_f16_sdwa v17, v10 dst_sel:DWORD dst_unused:UNUSED_PAD src0_sel:WORD_1
	v_cvt_f32_f16_sdwa v18, v12 dst_sel:DWORD dst_unused:UNUSED_PAD src0_sel:WORD_1
	v_sub_f32_e32 v7, v8, v7
	v_sub_f32_e32 v8, v14, v13
	v_sub_f32_e32 v13, v16, v15
	v_sub_f32_e32 v14, v18, v17
	v_fma_mix_f32 v15, s22, v7, v9 op_sel_hi:[0,0,1]
	v_fma_mix_f32 v7, -v3, v7, v11 op_sel_hi:[0,0,1]
	v_fma_mix_f32 v9, s22, v8, v9 op_sel:[0,0,1] op_sel_hi:[0,0,1]
	v_fma_mix_f32 v8, -v3, v8, v11 op_sel:[0,0,1] op_sel_hi:[0,0,1]
	v_fma_mix_f32 v11, s22, v13, v10 op_sel_hi:[0,0,1]
	v_fma_mix_f32 v13, -v3, v13, v12 op_sel_hi:[0,0,1]
	v_fma_mix_f32 v10, s22, v14, v10 op_sel:[0,0,1] op_sel_hi:[0,0,1]
	v_fma_mix_f32 v12, -v3, v14, v12 op_sel:[0,0,1] op_sel_hi:[0,0,1]
	v_cndmask_b32_e32 v7, v7, v15, vcc
	v_cndmask_b32_e32 v8, v8, v9, vcc
	;; [unrolled: 1-line block ×4, first 2 shown]
	v_cvt_f16_f32_e32 v7, v7
	v_cvt_f16_f32_e32 v9, v9
	v_cvt_f16_f32_e32 v10, v10
	v_cvt_f16_f32_e32 v11, v8
	v_pack_b32_f16 v8, v9, v10
	v_pack_b32_f16 v7, v7, v11
	global_store_dwordx2 v[5:6], v[7:8], off
	s_andn2_b64 exec, exec, s[20:21]
	s_cbranch_execnz .LBB28_3
.LBB28_4:
	s_or_b64 exec, exec, s[18:19]
	s_mov_b64 s[0:1], 0
.LBB28_5:
	s_andn2_b64 vcc, exec, s[0:1]
	s_cbranch_vccnz .LBB28_25
; %bb.6:
	v_cmp_lt_i64_e64 s[0:1], s[14:15], 1
	s_and_b64 vcc, exec, s[0:1]
	s_cbranch_vccnz .LBB28_25
; %bb.7:
	v_mov_b32_e32 v1, 0x10000
	s_load_dword s2, s[4:5], 0xd14
	v_mov_b32_e32 v2, 0
	v_cmp_lt_i64_e32 vcc, s[14:15], v[1:2]
	v_mov_b32_e32 v18, 0
	s_and_b64 s[0:1], vcc, exec
	s_cselect_b32 s13, s15, 0
	s_cselect_b32 s12, s14, 0x10000
	s_waitcnt lgkmcnt(0)
	s_and_b32 s2, s2, 0xffff
	v_lshlrev_b32_e32 v17, 1, v0
	v_mad_u64_u32 v[5:6], s[0:1], s2, 6, v[17:18]
	v_cmp_lt_u64_e32 vcc, s[14:15], v[1:2]
	v_mov_b32_e32 v2, s17
	s_and_b64 s[0:1], vcc, exec
	v_add_co_u32_e32 v1, vcc, s16, v5
	v_addc_co_u32_e32 v2, vcc, v2, v6, vcc
	v_mov_b32_e32 v4, s9
	v_add_co_u32_e32 v3, vcc, s8, v5
	v_addc_co_u32_e32 v4, vcc, v4, v6, vcc
	v_mov_b32_e32 v7, s7
	v_add_co_u32_e32 v5, vcc, s6, v5
	s_cselect_b32 s15, s15, 0
	s_cselect_b32 s14, s14, 0x10000
	s_lshl_b32 s20, s2, 2
	v_addc_co_u32_e32 v6, vcc, v7, v6, vcc
	v_add_co_u32_e32 v11, vcc, s20, v17
	v_addc_co_u32_e64 v12, s[0:1], 0, 0, vcc
	v_mov_b32_e32 v8, s17
	v_add_co_u32_e32 v7, vcc, s16, v11
	v_addc_co_u32_e32 v8, vcc, v8, v12, vcc
	v_mov_b32_e32 v10, s9
	v_add_co_u32_e32 v9, vcc, s8, v11
	v_addc_co_u32_e32 v10, vcc, v10, v12, vcc
	;; [unrolled: 3-line block ×6, first 2 shown]
	v_add_co_u32_e32 v19, vcc, s2, v0
	v_lshlrev_b32_e32 v25, 1, v19
	s_lshl_b32 s4, s2, 1
	s_mul_i32 s5, s2, 3
	s_lshl_b32 s21, s2, 3
	v_addc_co_u32_e64 v20, s[2:3], 0, 0, vcc
	v_mov_b32_e32 v22, s17
	v_add_co_u32_e32 v21, vcc, s16, v25
	v_addc_co_u32_e32 v22, vcc, 0, v22, vcc
	v_mov_b32_e32 v24, s9
	v_add_co_u32_e32 v23, vcc, s8, v25
	v_addc_co_u32_e32 v24, vcc, 0, v24, vcc
	;; [unrolled: 3-line block ×3, first 2 shown]
	v_add_co_u32_e32 v28, vcc, s5, v0
	v_addc_co_u32_e64 v29, s[2:3], 0, 0, vcc
	v_add_co_u32_e32 v30, vcc, s4, v0
	v_cmp_lt_f32_e64 s[0:1], |s22|, 0.5
	s_mov_b64 s[16:17], 0
	v_sub_f32_e64 v27, 1.0, s22
	v_addc_co_u32_e64 v31, s[2:3], 0, 0, vcc
	s_branch .LBB28_9
.LBB28_8:                               ;   in Loop: Header=BB28_9 Depth=1
	s_or_b64 exec, exec, s[2:3]
	v_add_co_u32_e32 v13, vcc, s21, v13
	v_addc_co_u32_e32 v14, vcc, 0, v14, vcc
	v_add_co_u32_e32 v15, vcc, s21, v15
	v_addc_co_u32_e32 v16, vcc, 0, v16, vcc
	v_add_co_u32_e32 v17, vcc, s21, v17
	v_addc_co_u32_e32 v18, vcc, 0, v18, vcc
	v_add_co_u32_e32 v1, vcc, s21, v1
	v_addc_co_u32_e32 v2, vcc, 0, v2, vcc
	v_add_co_u32_e32 v3, vcc, s21, v3
	v_addc_co_u32_e32 v4, vcc, 0, v4, vcc
	v_add_co_u32_e32 v5, vcc, s21, v5
	v_addc_co_u32_e32 v6, vcc, 0, v6, vcc
	v_add_co_u32_e32 v7, vcc, s21, v7
	v_addc_co_u32_e32 v8, vcc, 0, v8, vcc
	v_add_co_u32_e32 v9, vcc, s21, v9
	v_addc_co_u32_e32 v10, vcc, 0, v10, vcc
	v_add_co_u32_e32 v11, vcc, s21, v11
	v_addc_co_u32_e32 v12, vcc, 0, v12, vcc
	v_add_co_u32_e32 v21, vcc, s21, v21
	v_addc_co_u32_e32 v22, vcc, 0, v22, vcc
	s_add_u32 s16, s16, s20
	v_add_co_u32_e32 v23, vcc, s21, v23
	v_mov_b32_e32 v33, s13
	s_addc_u32 s17, s17, 0
	v_addc_co_u32_e32 v24, vcc, 0, v24, vcc
	v_mov_b32_e32 v32, s12
	v_cmp_ge_i64_e32 vcc, s[16:17], v[32:33]
	v_add_co_u32_e64 v25, s[2:3], s21, v25
	v_addc_co_u32_e64 v26, s[2:3], 0, v26, s[2:3]
	s_cbranch_vccnz .LBB28_25
.LBB28_9:                               ; =>This Inner Loop Header: Depth=1
	v_mov_b32_e32 v33, s17
	v_add_co_u32_e32 v32, vcc, s16, v0
	v_addc_co_u32_e32 v33, vcc, 0, v33, vcc
	v_cmp_gt_u64_e32 vcc, s[14:15], v[32:33]
	v_mov_b32_e32 v34, 0
	v_mov_b32_e32 v32, 0
	s_and_saveexec_b64 s[4:5], vcc
	s_cbranch_execz .LBB28_11
; %bb.10:                               ;   in Loop: Header=BB28_9 Depth=1
	v_mov_b32_e32 v35, s11
	v_add_co_u32_e64 v32, s[2:3], s10, v15
	v_addc_co_u32_e64 v33, s[2:3], v16, v35, s[2:3]
	v_add_co_u32_e64 v34, s[2:3], s10, v13
	v_addc_co_u32_e64 v35, s[2:3], v14, v35, s[2:3]
	global_load_ushort v36, v[34:35], off
	global_load_ushort v37, v[32:33], off
	s_waitcnt vmcnt(1)
	v_cvt_f32_f16_e32 v32, v36
	s_waitcnt vmcnt(0)
	v_cvt_f32_f16_e32 v34, v37
.LBB28_11:                              ;   in Loop: Header=BB28_9 Depth=1
	s_or_b64 exec, exec, s[4:5]
	v_mov_b32_e32 v33, s17
	v_add_co_u32_e64 v35, s[2:3], s16, v19
	v_addc_co_u32_e64 v36, s[2:3], v20, v33, s[2:3]
	v_cmp_gt_u64_e64 s[2:3], s[14:15], v[35:36]
	v_mov_b32_e32 v33, 0
	v_mov_b32_e32 v36, 0
	;; [unrolled: 1-line block ×3, first 2 shown]
	s_and_saveexec_b64 s[6:7], s[2:3]
	s_cbranch_execz .LBB28_13
; %bb.12:                               ;   in Loop: Header=BB28_9 Depth=1
	v_mov_b32_e32 v38, s11
	v_add_co_u32_e64 v35, s[4:5], s10, v23
	v_addc_co_u32_e64 v36, s[4:5], v24, v38, s[4:5]
	v_add_co_u32_e64 v37, s[4:5], s10, v21
	v_addc_co_u32_e64 v38, s[4:5], v22, v38, s[4:5]
	global_load_ushort v39, v[37:38], off
	global_load_ushort v40, v[35:36], off
	s_waitcnt vmcnt(1)
	v_cvt_f32_f16_e32 v35, v39
	s_waitcnt vmcnt(0)
	v_cvt_f32_f16_e32 v36, v40
.LBB28_13:                              ;   in Loop: Header=BB28_9 Depth=1
	s_or_b64 exec, exec, s[6:7]
	v_mov_b32_e32 v38, s17
	v_add_co_u32_e64 v37, s[4:5], s16, v30
	v_addc_co_u32_e64 v38, s[4:5], v31, v38, s[4:5]
	v_cmp_gt_u64_e64 s[4:5], s[14:15], v[37:38]
	v_mov_b32_e32 v37, 0
	s_and_saveexec_b64 s[8:9], s[4:5]
	s_cbranch_execz .LBB28_15
; %bb.14:                               ;   in Loop: Header=BB28_9 Depth=1
	v_mov_b32_e32 v33, s11
	v_add_co_u32_e64 v37, s[6:7], s10, v9
	v_addc_co_u32_e64 v38, s[6:7], v10, v33, s[6:7]
	v_add_co_u32_e64 v39, s[6:7], s10, v7
	v_addc_co_u32_e64 v40, s[6:7], v8, v33, s[6:7]
	global_load_ushort v33, v[39:40], off
	global_load_ushort v41, v[37:38], off
	s_waitcnt vmcnt(1)
	v_cvt_f32_f16_e32 v37, v33
	s_waitcnt vmcnt(0)
	v_cvt_f32_f16_e32 v33, v41
.LBB28_15:                              ;   in Loop: Header=BB28_9 Depth=1
	s_or_b64 exec, exec, s[8:9]
	v_mov_b32_e32 v39, s17
	v_add_co_u32_e64 v38, s[6:7], s16, v28
	v_addc_co_u32_e64 v39, s[6:7], v29, v39, s[6:7]
	v_cmp_gt_u64_e64 s[6:7], s[14:15], v[38:39]
	v_mov_b32_e32 v38, 0
	v_mov_b32_e32 v39, 0
	s_and_saveexec_b64 s[18:19], s[6:7]
	s_cbranch_execnz .LBB28_20
; %bb.16:                               ;   in Loop: Header=BB28_9 Depth=1
	s_or_b64 exec, exec, s[18:19]
	s_and_saveexec_b64 s[8:9], vcc
	s_cbranch_execnz .LBB28_21
.LBB28_17:                              ;   in Loop: Header=BB28_9 Depth=1
	s_or_b64 exec, exec, s[8:9]
	s_and_saveexec_b64 s[8:9], s[2:3]
	s_cbranch_execnz .LBB28_22
.LBB28_18:                              ;   in Loop: Header=BB28_9 Depth=1
	s_or_b64 exec, exec, s[8:9]
	s_and_saveexec_b64 s[2:3], s[4:5]
	s_cbranch_execnz .LBB28_23
.LBB28_19:                              ;   in Loop: Header=BB28_9 Depth=1
	s_or_b64 exec, exec, s[2:3]
	s_and_saveexec_b64 s[2:3], s[6:7]
	s_cbranch_execz .LBB28_8
	s_branch .LBB28_24
.LBB28_20:                              ;   in Loop: Header=BB28_9 Depth=1
	v_mov_b32_e32 v41, s11
	v_add_co_u32_e64 v38, s[8:9], s10, v3
	v_addc_co_u32_e64 v39, s[8:9], v4, v41, s[8:9]
	v_add_co_u32_e64 v40, s[8:9], s10, v1
	v_addc_co_u32_e64 v41, s[8:9], v2, v41, s[8:9]
	global_load_ushort v42, v[40:41], off
	global_load_ushort v43, v[38:39], off
	s_waitcnt vmcnt(1)
	v_cvt_f32_f16_e32 v39, v42
	s_waitcnt vmcnt(0)
	v_cvt_f32_f16_e32 v38, v43
	s_or_b64 exec, exec, s[18:19]
	s_and_saveexec_b64 s[8:9], vcc
	s_cbranch_execz .LBB28_17
.LBB28_21:                              ;   in Loop: Header=BB28_9 Depth=1
	v_sub_f32_e32 v40, v34, v32
	v_fmac_f32_e32 v32, s22, v40
	v_fma_f32 v34, -v27, v40, v34
	v_cndmask_b32_e64 v32, v34, v32, s[0:1]
	v_cvt_f16_f32_e32 v32, v32
	v_mov_b32_e32 v41, s11
	v_add_co_u32_e32 v40, vcc, s10, v17
	v_addc_co_u32_e32 v41, vcc, v18, v41, vcc
	global_store_short v[40:41], v32, off
	s_or_b64 exec, exec, s[8:9]
	s_and_saveexec_b64 s[8:9], s[2:3]
	s_cbranch_execz .LBB28_18
.LBB28_22:                              ;   in Loop: Header=BB28_9 Depth=1
	v_sub_f32_e32 v32, v36, v35
	v_fmac_f32_e32 v35, s22, v32
	v_fma_f32 v32, -v27, v32, v36
	v_cndmask_b32_e64 v32, v32, v35, s[0:1]
	v_cvt_f16_f32_e32 v32, v32
	v_mov_b32_e32 v35, s11
	v_add_co_u32_e32 v34, vcc, s10, v25
	v_addc_co_u32_e32 v35, vcc, v26, v35, vcc
	global_store_short v[34:35], v32, off
	s_or_b64 exec, exec, s[8:9]
	s_and_saveexec_b64 s[2:3], s[4:5]
	s_cbranch_execz .LBB28_19
.LBB28_23:                              ;   in Loop: Header=BB28_9 Depth=1
	v_sub_f32_e32 v32, v33, v37
	v_fmac_f32_e32 v37, s22, v32
	v_fma_f32 v32, -v27, v32, v33
	v_cndmask_b32_e64 v32, v32, v37, s[0:1]
	v_cvt_f16_f32_e32 v34, v32
	v_mov_b32_e32 v33, s11
	v_add_co_u32_e32 v32, vcc, s10, v11
	v_addc_co_u32_e32 v33, vcc, v12, v33, vcc
	global_store_short v[32:33], v34, off
	s_or_b64 exec, exec, s[2:3]
	s_and_saveexec_b64 s[2:3], s[6:7]
	s_cbranch_execz .LBB28_8
.LBB28_24:                              ;   in Loop: Header=BB28_9 Depth=1
	v_sub_f32_e32 v32, v38, v39
	v_fmac_f32_e32 v39, s22, v32
	v_fma_f32 v32, -v27, v32, v38
	v_cndmask_b32_e64 v32, v32, v39, s[0:1]
	v_cvt_f16_f32_e32 v34, v32
	v_mov_b32_e32 v33, s11
	v_add_co_u32_e32 v32, vcc, s10, v5
	v_addc_co_u32_e32 v33, vcc, v6, v33, vcc
	global_store_short v[32:33], v34, off
	s_branch .LBB28_8
.LBB28_25:
	s_endpgm
	.section	.rodata,"a",@progbits
	.p2align	6, 0x0
	.amdhsa_kernel _ZN2at6native12_GLOBAL__N_125multi_tensor_apply_kernelINS1_28TensorListScalarListMetadataIfLi3EEENS1_26TernaryOpScalarListFunctorIN3c104HalfELi3ELi2ELi2EEEJNS0_11LerpFunctorIfEEEEEvT_T0_DpT1_
		.amdhsa_group_segment_fixed_size 0
		.amdhsa_private_segment_fixed_size 0
		.amdhsa_kernarg_size 3592
		.amdhsa_user_sgpr_count 6
		.amdhsa_user_sgpr_private_segment_buffer 1
		.amdhsa_user_sgpr_dispatch_ptr 0
		.amdhsa_user_sgpr_queue_ptr 0
		.amdhsa_user_sgpr_kernarg_segment_ptr 1
		.amdhsa_user_sgpr_dispatch_id 0
		.amdhsa_user_sgpr_flat_scratch_init 0
		.amdhsa_user_sgpr_private_segment_size 0
		.amdhsa_uses_dynamic_stack 0
		.amdhsa_system_sgpr_private_segment_wavefront_offset 0
		.amdhsa_system_sgpr_workgroup_id_x 1
		.amdhsa_system_sgpr_workgroup_id_y 0
		.amdhsa_system_sgpr_workgroup_id_z 0
		.amdhsa_system_sgpr_workgroup_info 0
		.amdhsa_system_vgpr_workitem_id 0
		.amdhsa_next_free_vgpr 44
		.amdhsa_next_free_sgpr 31
		.amdhsa_reserve_vcc 1
		.amdhsa_reserve_flat_scratch 0
		.amdhsa_float_round_mode_32 0
		.amdhsa_float_round_mode_16_64 0
		.amdhsa_float_denorm_mode_32 3
		.amdhsa_float_denorm_mode_16_64 3
		.amdhsa_dx10_clamp 1
		.amdhsa_ieee_mode 1
		.amdhsa_fp16_overflow 0
		.amdhsa_exception_fp_ieee_invalid_op 0
		.amdhsa_exception_fp_denorm_src 0
		.amdhsa_exception_fp_ieee_div_zero 0
		.amdhsa_exception_fp_ieee_overflow 0
		.amdhsa_exception_fp_ieee_underflow 0
		.amdhsa_exception_fp_ieee_inexact 0
		.amdhsa_exception_int_div_zero 0
	.end_amdhsa_kernel
	.section	.text._ZN2at6native12_GLOBAL__N_125multi_tensor_apply_kernelINS1_28TensorListScalarListMetadataIfLi3EEENS1_26TernaryOpScalarListFunctorIN3c104HalfELi3ELi2ELi2EEEJNS0_11LerpFunctorIfEEEEEvT_T0_DpT1_,"axG",@progbits,_ZN2at6native12_GLOBAL__N_125multi_tensor_apply_kernelINS1_28TensorListScalarListMetadataIfLi3EEENS1_26TernaryOpScalarListFunctorIN3c104HalfELi3ELi2ELi2EEEJNS0_11LerpFunctorIfEEEEEvT_T0_DpT1_,comdat
.Lfunc_end28:
	.size	_ZN2at6native12_GLOBAL__N_125multi_tensor_apply_kernelINS1_28TensorListScalarListMetadataIfLi3EEENS1_26TernaryOpScalarListFunctorIN3c104HalfELi3ELi2ELi2EEEJNS0_11LerpFunctorIfEEEEEvT_T0_DpT1_, .Lfunc_end28-_ZN2at6native12_GLOBAL__N_125multi_tensor_apply_kernelINS1_28TensorListScalarListMetadataIfLi3EEENS1_26TernaryOpScalarListFunctorIN3c104HalfELi3ELi2ELi2EEEJNS0_11LerpFunctorIfEEEEEvT_T0_DpT1_
                                        ; -- End function
	.set _ZN2at6native12_GLOBAL__N_125multi_tensor_apply_kernelINS1_28TensorListScalarListMetadataIfLi3EEENS1_26TernaryOpScalarListFunctorIN3c104HalfELi3ELi2ELi2EEEJNS0_11LerpFunctorIfEEEEEvT_T0_DpT1_.num_vgpr, 44
	.set _ZN2at6native12_GLOBAL__N_125multi_tensor_apply_kernelINS1_28TensorListScalarListMetadataIfLi3EEENS1_26TernaryOpScalarListFunctorIN3c104HalfELi3ELi2ELi2EEEJNS0_11LerpFunctorIfEEEEEvT_T0_DpT1_.num_agpr, 0
	.set _ZN2at6native12_GLOBAL__N_125multi_tensor_apply_kernelINS1_28TensorListScalarListMetadataIfLi3EEENS1_26TernaryOpScalarListFunctorIN3c104HalfELi3ELi2ELi2EEEJNS0_11LerpFunctorIfEEEEEvT_T0_DpT1_.numbered_sgpr, 31
	.set _ZN2at6native12_GLOBAL__N_125multi_tensor_apply_kernelINS1_28TensorListScalarListMetadataIfLi3EEENS1_26TernaryOpScalarListFunctorIN3c104HalfELi3ELi2ELi2EEEJNS0_11LerpFunctorIfEEEEEvT_T0_DpT1_.num_named_barrier, 0
	.set _ZN2at6native12_GLOBAL__N_125multi_tensor_apply_kernelINS1_28TensorListScalarListMetadataIfLi3EEENS1_26TernaryOpScalarListFunctorIN3c104HalfELi3ELi2ELi2EEEJNS0_11LerpFunctorIfEEEEEvT_T0_DpT1_.private_seg_size, 0
	.set _ZN2at6native12_GLOBAL__N_125multi_tensor_apply_kernelINS1_28TensorListScalarListMetadataIfLi3EEENS1_26TernaryOpScalarListFunctorIN3c104HalfELi3ELi2ELi2EEEJNS0_11LerpFunctorIfEEEEEvT_T0_DpT1_.uses_vcc, 1
	.set _ZN2at6native12_GLOBAL__N_125multi_tensor_apply_kernelINS1_28TensorListScalarListMetadataIfLi3EEENS1_26TernaryOpScalarListFunctorIN3c104HalfELi3ELi2ELi2EEEJNS0_11LerpFunctorIfEEEEEvT_T0_DpT1_.uses_flat_scratch, 0
	.set _ZN2at6native12_GLOBAL__N_125multi_tensor_apply_kernelINS1_28TensorListScalarListMetadataIfLi3EEENS1_26TernaryOpScalarListFunctorIN3c104HalfELi3ELi2ELi2EEEJNS0_11LerpFunctorIfEEEEEvT_T0_DpT1_.has_dyn_sized_stack, 0
	.set _ZN2at6native12_GLOBAL__N_125multi_tensor_apply_kernelINS1_28TensorListScalarListMetadataIfLi3EEENS1_26TernaryOpScalarListFunctorIN3c104HalfELi3ELi2ELi2EEEJNS0_11LerpFunctorIfEEEEEvT_T0_DpT1_.has_recursion, 0
	.set _ZN2at6native12_GLOBAL__N_125multi_tensor_apply_kernelINS1_28TensorListScalarListMetadataIfLi3EEENS1_26TernaryOpScalarListFunctorIN3c104HalfELi3ELi2ELi2EEEJNS0_11LerpFunctorIfEEEEEvT_T0_DpT1_.has_indirect_call, 0
	.section	.AMDGPU.csdata,"",@progbits
; Kernel info:
; codeLenInByte = 1936
; TotalNumSgprs: 35
; NumVgprs: 44
; ScratchSize: 0
; MemoryBound: 0
; FloatMode: 240
; IeeeMode: 1
; LDSByteSize: 0 bytes/workgroup (compile time only)
; SGPRBlocks: 4
; VGPRBlocks: 10
; NumSGPRsForWavesPerEU: 35
; NumVGPRsForWavesPerEU: 44
; Occupancy: 5
; WaveLimiterHint : 0
; COMPUTE_PGM_RSRC2:SCRATCH_EN: 0
; COMPUTE_PGM_RSRC2:USER_SGPR: 6
; COMPUTE_PGM_RSRC2:TRAP_HANDLER: 0
; COMPUTE_PGM_RSRC2:TGID_X_EN: 1
; COMPUTE_PGM_RSRC2:TGID_Y_EN: 0
; COMPUTE_PGM_RSRC2:TGID_Z_EN: 0
; COMPUTE_PGM_RSRC2:TIDIG_COMP_CNT: 0
	.section	.text._ZN2at6native12_GLOBAL__N_125multi_tensor_apply_kernelINS1_28TensorListScalarListMetadataIfLi3EEENS1_26TernaryOpScalarListFunctorIN3c108BFloat16ELi3ELi2ELi2EEEJNS0_11LerpFunctorIfEEEEEvT_T0_DpT1_,"axG",@progbits,_ZN2at6native12_GLOBAL__N_125multi_tensor_apply_kernelINS1_28TensorListScalarListMetadataIfLi3EEENS1_26TernaryOpScalarListFunctorIN3c108BFloat16ELi3ELi2ELi2EEEJNS0_11LerpFunctorIfEEEEEvT_T0_DpT1_,comdat
	.globl	_ZN2at6native12_GLOBAL__N_125multi_tensor_apply_kernelINS1_28TensorListScalarListMetadataIfLi3EEENS1_26TernaryOpScalarListFunctorIN3c108BFloat16ELi3ELi2ELi2EEEJNS0_11LerpFunctorIfEEEEEvT_T0_DpT1_ ; -- Begin function _ZN2at6native12_GLOBAL__N_125multi_tensor_apply_kernelINS1_28TensorListScalarListMetadataIfLi3EEENS1_26TernaryOpScalarListFunctorIN3c108BFloat16ELi3ELi2ELi2EEEJNS0_11LerpFunctorIfEEEEEvT_T0_DpT1_
	.p2align	8
	.type	_ZN2at6native12_GLOBAL__N_125multi_tensor_apply_kernelINS1_28TensorListScalarListMetadataIfLi3EEENS1_26TernaryOpScalarListFunctorIN3c108BFloat16ELi3ELi2ELi2EEEJNS0_11LerpFunctorIfEEEEEvT_T0_DpT1_,@function
_ZN2at6native12_GLOBAL__N_125multi_tensor_apply_kernelINS1_28TensorListScalarListMetadataIfLi3EEENS1_26TernaryOpScalarListFunctorIN3c108BFloat16ELi3ELi2ELi2EEEJNS0_11LerpFunctorIfEEEEEvT_T0_DpT1_: ; @_ZN2at6native12_GLOBAL__N_125multi_tensor_apply_kernelINS1_28TensorListScalarListMetadataIfLi3EEENS1_26TernaryOpScalarListFunctorIN3c108BFloat16ELi3ELi2ELi2EEEJNS0_11LerpFunctorIfEEEEEvT_T0_DpT1_
; %bb.0:
	v_mov_b32_e32 v1, s6
	global_load_ubyte v1, v1, s[4:5] offset:1728
	s_add_u32 s0, s4, s6
	s_mul_i32 s1, s6, 3
	s_addc_u32 s2, s5, 0
	s_mul_hi_u32 s3, s6, 3
	s_add_u32 s0, s0, s1
	s_addc_u32 s1, s2, s3
	s_load_dword s0, s[0:1], 0x800
	s_mov_b32 s3, 0
	s_mov_b32 s7, s3
	v_mov_b32_e32 v2, 0
	s_waitcnt lgkmcnt(0)
	s_ashr_i32 s1, s0, 31
	s_waitcnt vmcnt(0)
	v_readfirstlane_b32 s2, v1
	v_lshlrev_b32_e32 v1, 2, v1
	v_sub_co_u32_e32 v1, vcc, 0, v1
	s_lshl_b32 s2, s2, 3
	v_subb_co_u32_e64 v3, s[8:9], 0, 0, vcc
	s_load_dwordx2 s[12:13], s[4:5], s2 offset:0x480
	s_load_dwordx2 s[18:19], s[4:5], s2 offset:0x0
	;; [unrolled: 1-line block ×4, first 2 shown]
	s_add_u32 s6, s4, s2
	s_addc_u32 s2, s5, 0
	s_lshl_b64 s[10:11], s[0:1], 17
	v_add_co_u32_e32 v1, vcc, s6, v1
	s_waitcnt lgkmcnt(0)
	s_add_u32 s6, s16, s10
	s_or_b32 s6, s8, s6
	v_mov_b32_e32 v4, s2
	s_and_b32 s2, s18, 7
	s_and_b32 s6, s6, 7
	v_addc_co_u32_e32 v3, vcc, v4, v3, vcc
	s_cmp_lg_u32 s6, 0
	v_readfirstlane_b32 s14, v1
	v_readfirstlane_b32 s15, v3
	s_cselect_b64 s[20:21], -1, 0
	s_lshl_b64 s[0:1], s[0:1], 16
	s_load_dword s24, s[14:15], 0x600
	s_sub_u32 s14, s12, s0
	s_subb_u32 s15, s13, s1
	s_and_b32 s6, s12, 3
	s_or_b64 s[0:1], s[2:3], s[6:7]
	s_cmp_lg_u64 s[0:1], 0
	s_cselect_b64 s[0:1], -1, 0
	s_or_b64 s[0:1], s[20:21], s[0:1]
	s_andn2_b64 vcc, exec, s[0:1]
	s_mov_b64 s[0:1], -1
	s_cbranch_vccz .LBB29_5
; %bb.1:
	v_mov_b32_e32 v3, 0x10000
	v_mov_b32_e32 v4, 0
	v_cmp_lt_i64_e32 vcc, s[14:15], v[3:4]
	v_lshlrev_b32_e32 v1, 2, v0
	s_and_b64 s[0:1], vcc, exec
	s_cselect_b32 s13, s15, 0
	s_cselect_b32 s12, s14, 0x10000
	v_cmp_gt_i64_e32 vcc, s[12:13], v[1:2]
	s_and_saveexec_b64 s[20:21], vcc
	s_cbranch_execz .LBB29_4
; %bb.2:
	s_load_dword s0, s[4:5], 0xd14
	v_mov_b32_e32 v1, v2
	v_lshlrev_b32_e32 v2, 3, v0
	v_mov_b32_e32 v5, s11
	s_waitcnt lgkmcnt(0)
	v_cmp_lt_f32_e64 vcc, |s24|, 0.5
	s_and_b32 s25, s0, 0xffff
	v_add_co_u32_e64 v4, s[0:1], s10, v2
	v_mov_b32_e32 v2, v1
	v_sub_f32_e64 v3, 1.0, s24
	v_addc_co_u32_e64 v5, s[0:1], 0, v5, s[0:1]
	s_lshl_b32 s26, s25, 3
	s_mov_b64 s[22:23], 0
	v_mov_b32_e32 v6, s19
	v_mov_b32_e32 v7, s17
	s_movk_i32 s27, 0x7fff
	v_mov_b32_e32 v8, 0x7fc0
	v_mov_b32_e32 v9, 0x7fc00000
	;; [unrolled: 1-line block ×4, first 2 shown]
.LBB29_3:                               ; =>This Inner Loop Header: Depth=1
	v_add_co_u32_e64 v11, s[0:1], s18, v4
	v_addc_co_u32_e64 v12, s[0:1], v6, v5, s[0:1]
	v_add_co_u32_e64 v13, s[0:1], s16, v4
	v_addc_co_u32_e64 v14, s[0:1], v7, v5, s[0:1]
	global_load_dwordx2 v[15:16], v[11:12], off
	global_load_dwordx2 v[17:18], v[13:14], off
	v_add_co_u32_e64 v11, s[0:1], s8, v4
	v_addc_co_u32_e64 v12, s[0:1], v10, v5, s[0:1]
	v_add_co_u32_e64 v1, s[0:1], s25, v1
	v_addc_co_u32_e64 v2, s[0:1], 0, v2, s[0:1]
	v_add_co_u32_e64 v4, s[0:1], s26, v4
	v_lshlrev_b64 v[13:14], 2, v[1:2]
	v_addc_co_u32_e64 v5, s[0:1], 0, v5, s[0:1]
	v_cmp_le_i64_e64 s[0:1], s[12:13], v[13:14]
	s_or_b64 s[22:23], s[0:1], s[22:23]
	s_waitcnt vmcnt(1)
	v_lshlrev_b32_e32 v13, 16, v15
	s_waitcnt vmcnt(0)
	v_lshlrev_b32_e32 v14, 16, v17
	v_and_b32_e32 v19, 0xffff0000, v15
	v_and_b32_e32 v20, 0xffff0000, v17
	v_alignbit_b32 v15, v16, v15, 16
	v_alignbit_b32 v17, v18, v17, 16
	v_and_b32_e32 v16, 0xffff0000, v16
	v_and_b32_e32 v18, 0xffff0000, v18
	v_sub_f32_e32 v21, v14, v13
	v_sub_f32_e32 v22, v20, v19
	v_and_b32_e32 v15, 0xffff0000, v15
	v_and_b32_e32 v17, 0xffff0000, v17
	v_sub_f32_e32 v23, v18, v16
	v_fmac_f32_e32 v13, s24, v21
	v_fma_f32 v14, -v3, v21, v14
	v_fmac_f32_e32 v19, s24, v22
	v_fma_f32 v20, -v3, v22, v20
	v_sub_f32_e32 v21, v17, v15
	v_fmac_f32_e32 v16, s24, v23
	v_fma_f32 v18, -v3, v23, v18
	v_cndmask_b32_e32 v13, v14, v13, vcc
	v_cndmask_b32_e32 v14, v20, v19, vcc
	v_fmac_f32_e32 v15, s24, v21
	v_fma_f32 v17, -v3, v21, v17
	v_cndmask_b32_e32 v16, v18, v16, vcc
	v_bfe_u32 v18, v13, 16, 1
	v_bfe_u32 v19, v14, 16, 1
	v_cndmask_b32_e32 v15, v17, v15, vcc
	v_bfe_u32 v17, v16, 16, 1
	v_add3_u32 v18, v13, v18, s27
	v_add3_u32 v19, v14, v19, s27
	v_bfe_u32 v20, v15, 16, 1
	v_add3_u32 v17, v16, v17, s27
	v_lshrrev_b32_e32 v18, 16, v18
	v_and_b32_e32 v19, 0xffff0000, v19
	v_cmp_o_f32_e64 s[0:1], v14, v14
	v_add3_u32 v14, v15, v20, s27
	v_cmp_o_f32_e64 s[6:7], v13, v13
	v_and_b32_e32 v17, 0xffff0000, v17
	v_cmp_o_f32_e64 s[2:3], v16, v16
	v_cndmask_b32_e64 v13, v8, v18, s[6:7]
	v_cndmask_b32_e64 v16, v9, v19, s[0:1]
	v_lshrrev_b32_e32 v14, 16, v14
	v_cmp_o_f32_e64 s[0:1], v15, v15
	v_cndmask_b32_e64 v15, v9, v17, s[2:3]
	v_or_b32_e32 v13, v13, v16
	v_cndmask_b32_e64 v14, v8, v14, s[0:1]
	v_or3_b32 v14, 0, v14, v15
	v_or3_b32 v13, v13, 0, 0
	global_store_dwordx2 v[11:12], v[13:14], off
	s_andn2_b64 exec, exec, s[22:23]
	s_cbranch_execnz .LBB29_3
.LBB29_4:
	s_or_b64 exec, exec, s[20:21]
	s_mov_b64 s[0:1], 0
.LBB29_5:
	s_andn2_b64 vcc, exec, s[0:1]
	s_cbranch_vccnz .LBB29_25
; %bb.6:
	v_cmp_lt_i64_e64 s[0:1], s[14:15], 1
	s_and_b64 vcc, exec, s[0:1]
	s_cbranch_vccnz .LBB29_25
; %bb.7:
	v_mov_b32_e32 v1, 0x10000
	s_load_dword s2, s[4:5], 0xd14
	v_mov_b32_e32 v2, 0
	v_cmp_lt_i64_e32 vcc, s[14:15], v[1:2]
	v_mov_b32_e32 v3, 0
	s_and_b64 s[0:1], vcc, exec
	s_cselect_b32 s13, s15, 0
	s_cselect_b32 s12, s14, 0x10000
	v_cmp_lt_u64_e32 vcc, s[14:15], v[1:2]
	s_waitcnt lgkmcnt(0)
	s_and_b32 s2, s2, 0xffff
	v_lshlrev_b32_e32 v2, 1, v0
	v_mad_u64_u32 v[3:4], s[0:1], s2, 6, v[2:3]
	s_and_b64 s[0:1], vcc, exec
	v_mov_b32_e32 v6, s19
	v_add_co_u32_e32 v5, vcc, s18, v3
	v_addc_co_u32_e32 v6, vcc, v6, v4, vcc
	v_mov_b32_e32 v8, s17
	v_add_co_u32_e32 v7, vcc, s16, v3
	v_addc_co_u32_e32 v8, vcc, v8, v4, vcc
	v_mov_b32_e32 v10, s9
	v_add_co_u32_e32 v9, vcc, s8, v3
	s_cselect_b32 s15, s15, 0
	s_cselect_b32 s14, s14, 0x10000
	s_lshl_b32 s20, s2, 2
	v_addc_co_u32_e32 v10, vcc, v10, v4, vcc
	v_add_co_u32_e32 v3, vcc, s20, v2
	v_addc_co_u32_e64 v4, s[0:1], 0, 0, vcc
	v_mov_b32_e32 v12, s19
	v_add_co_u32_e32 v11, vcc, s18, v3
	v_addc_co_u32_e32 v12, vcc, v12, v4, vcc
	v_mov_b32_e32 v14, s17
	v_add_co_u32_e32 v13, vcc, s16, v3
	v_addc_co_u32_e32 v14, vcc, v14, v4, vcc
	;; [unrolled: 3-line block ×6, first 2 shown]
	v_add_co_u32_e32 v23, vcc, s2, v0
	v_lshlrev_b32_e32 v1, 1, v23
	s_lshl_b32 s4, s2, 1
	s_mul_i32 s5, s2, 3
	s_lshl_b32 s22, s2, 3
	v_addc_co_u32_e64 v24, s[2:3], 0, 0, vcc
	v_mov_b32_e32 v2, s19
	v_add_co_u32_e32 v25, vcc, s18, v1
	v_addc_co_u32_e32 v26, vcc, 0, v2, vcc
	v_mov_b32_e32 v2, s17
	v_add_co_u32_e32 v27, vcc, s16, v1
	v_addc_co_u32_e32 v28, vcc, 0, v2, vcc
	;; [unrolled: 3-line block ×3, first 2 shown]
	v_add_co_u32_e32 v32, vcc, s5, v0
	v_addc_co_u32_e64 v33, s[2:3], 0, 0, vcc
	v_add_co_u32_e32 v34, vcc, s4, v0
	s_mov_b32 s21, 0
	v_cmp_lt_f32_e64 s[0:1], |s24|, 0.5
	s_mov_b64 s[16:17], 0
	s_movk_i32 s23, 0x7fff
	v_sub_f32_e64 v31, 1.0, s24
	v_addc_co_u32_e64 v35, s[2:3], 0, 0, vcc
	v_mov_b32_e32 v36, 0x7fc0
	s_branch .LBB29_9
.LBB29_8:                               ;   in Loop: Header=BB29_9 Depth=1
	s_or_b64 exec, exec, s[2:3]
	v_add_co_u32_e32 v17, vcc, s22, v17
	v_addc_co_u32_e32 v18, vcc, 0, v18, vcc
	v_add_co_u32_e32 v19, vcc, s22, v19
	v_addc_co_u32_e32 v20, vcc, 0, v20, vcc
	;; [unrolled: 2-line block ×10, first 2 shown]
	s_add_u32 s16, s16, s20
	v_add_co_u32_e32 v27, vcc, s22, v27
	v_mov_b32_e32 v1, s12
	s_addc_u32 s17, s17, 0
	v_addc_co_u32_e32 v28, vcc, 0, v28, vcc
	v_mov_b32_e32 v2, s13
	v_cmp_ge_i64_e32 vcc, s[16:17], v[1:2]
	v_add_co_u32_e64 v29, s[2:3], s22, v29
	v_addc_co_u32_e64 v30, s[2:3], 0, v30, s[2:3]
	s_cbranch_vccnz .LBB29_25
.LBB29_9:                               ; =>This Inner Loop Header: Depth=1
	v_mov_b32_e32 v2, s17
	v_add_co_u32_e32 v1, vcc, s16, v0
	v_addc_co_u32_e32 v2, vcc, 0, v2, vcc
	v_cmp_gt_u64_e32 vcc, s[14:15], v[1:2]
	v_mov_b32_e32 v1, 0
	v_mov_b32_e32 v3, 0
	v_mov_b32_e32 v2, 0
	v_mov_b32_e32 v4, 0
	s_and_saveexec_b64 s[4:5], vcc
	s_cbranch_execz .LBB29_11
; %bb.10:                               ;   in Loop: Header=BB29_9 Depth=1
	v_mov_b32_e32 v4, s11
	v_add_co_u32_e64 v1, s[2:3], s10, v19
	v_addc_co_u32_e64 v2, s[2:3], v20, v4, s[2:3]
	v_add_co_u32_e64 v3, s[2:3], s10, v17
	v_addc_co_u32_e64 v4, s[2:3], v18, v4, s[2:3]
	global_load_ushort v37, v[3:4], off
	global_load_ushort v38, v[1:2], off
	v_mov_b32_e32 v4, s21
	v_mov_b32_e32 v2, s21
	s_waitcnt vmcnt(1)
	v_and_b32_e32 v3, 0xffff, v37
	s_waitcnt vmcnt(0)
	v_and_b32_e32 v1, 0xffff, v38
.LBB29_11:                              ;   in Loop: Header=BB29_9 Depth=1
	s_or_b64 exec, exec, s[4:5]
	v_mov_b32_e32 v38, s17
	v_add_co_u32_e64 v37, s[2:3], s16, v23
	v_addc_co_u32_e64 v38, s[2:3], v24, v38, s[2:3]
	v_cmp_gt_u64_e64 s[2:3], s[14:15], v[37:38]
	s_and_saveexec_b64 s[6:7], s[2:3]
	s_cbranch_execz .LBB29_13
; %bb.12:                               ;   in Loop: Header=BB29_9 Depth=1
	v_mov_b32_e32 v39, s11
	v_add_co_u32_e64 v37, s[4:5], s10, v25
	v_addc_co_u32_e64 v38, s[4:5], v26, v39, s[4:5]
	global_load_ushort v40, v[37:38], off
	v_add_co_u32_e64 v37, s[4:5], s10, v27
	v_addc_co_u32_e64 v38, s[4:5], v28, v39, s[4:5]
	global_load_ushort v37, v[37:38], off
	s_waitcnt vmcnt(1)
	v_lshl_or_b32 v3, v40, 16, v3
	s_waitcnt vmcnt(0)
	v_lshl_or_b32 v1, v37, 16, v1
.LBB29_13:                              ;   in Loop: Header=BB29_9 Depth=1
	s_or_b64 exec, exec, s[6:7]
	v_mov_b32_e32 v38, s17
	v_add_co_u32_e64 v37, s[4:5], s16, v34
	v_addc_co_u32_e64 v38, s[4:5], v35, v38, s[4:5]
	v_cmp_gt_u64_e64 s[4:5], s[14:15], v[37:38]
	v_cmp_le_u64_e64 s[6:7], s[14:15], v[37:38]
	s_and_saveexec_b64 s[8:9], s[6:7]
	s_xor_b64 s[6:7], exec, s[8:9]
	s_andn2_saveexec_b64 s[8:9], s[6:7]
	s_cbranch_execz .LBB29_15
; %bb.14:                               ;   in Loop: Header=BB29_9 Depth=1
	v_mov_b32_e32 v39, s11
	v_add_co_u32_e64 v37, s[6:7], s10, v11
	v_addc_co_u32_e64 v38, s[6:7], v12, v39, s[6:7]
	global_load_ushort v40, v[37:38], off
	v_add_co_u32_e64 v37, s[6:7], s10, v13
	v_addc_co_u32_e64 v38, s[6:7], v14, v39, s[6:7]
	global_load_ushort v37, v[37:38], off
	s_waitcnt vmcnt(1)
	v_or_b32_e32 v4, v40, v4
	s_waitcnt vmcnt(0)
	v_or_b32_e32 v2, v37, v2
.LBB29_15:                              ;   in Loop: Header=BB29_9 Depth=1
	s_or_b64 exec, exec, s[8:9]
	v_mov_b32_e32 v38, s17
	v_add_co_u32_e64 v37, s[6:7], s16, v32
	v_addc_co_u32_e64 v38, s[6:7], v33, v38, s[6:7]
	v_cmp_gt_u64_e64 s[6:7], s[14:15], v[37:38]
	s_and_saveexec_b64 s[18:19], s[6:7]
	s_cbranch_execnz .LBB29_20
; %bb.16:                               ;   in Loop: Header=BB29_9 Depth=1
	s_or_b64 exec, exec, s[18:19]
	s_and_saveexec_b64 s[8:9], vcc
	s_cbranch_execnz .LBB29_21
.LBB29_17:                              ;   in Loop: Header=BB29_9 Depth=1
	s_or_b64 exec, exec, s[8:9]
	s_and_saveexec_b64 s[8:9], s[2:3]
	s_cbranch_execnz .LBB29_22
.LBB29_18:                              ;   in Loop: Header=BB29_9 Depth=1
	s_or_b64 exec, exec, s[8:9]
	s_and_saveexec_b64 s[2:3], s[4:5]
	s_cbranch_execnz .LBB29_23
.LBB29_19:                              ;   in Loop: Header=BB29_9 Depth=1
	s_or_b64 exec, exec, s[2:3]
	s_and_saveexec_b64 s[2:3], s[6:7]
	s_cbranch_execz .LBB29_8
	s_branch .LBB29_24
.LBB29_20:                              ;   in Loop: Header=BB29_9 Depth=1
	v_mov_b32_e32 v39, s11
	v_add_co_u32_e64 v37, s[8:9], s10, v5
	v_addc_co_u32_e64 v38, s[8:9], v6, v39, s[8:9]
	global_load_ushort v40, v[37:38], off
	v_add_co_u32_e64 v37, s[8:9], s10, v7
	v_addc_co_u32_e64 v38, s[8:9], v8, v39, s[8:9]
	global_load_ushort v37, v[37:38], off
	v_add_co_u32_e64 v1, s[8:9], 0, v1
	s_waitcnt vmcnt(1)
	v_lshlrev_b32_e32 v38, 16, v40
	v_or_b32_e32 v4, v38, v4
	s_waitcnt vmcnt(0)
	v_lshlrev_b32_e32 v37, 16, v37
	v_addc_co_u32_e64 v2, s[8:9], v37, v2, s[8:9]
	s_or_b64 exec, exec, s[18:19]
	s_and_saveexec_b64 s[8:9], vcc
	s_cbranch_execz .LBB29_17
.LBB29_21:                              ;   in Loop: Header=BB29_9 Depth=1
	v_lshlrev_b32_e32 v37, 16, v1
	v_lshlrev_b32_e32 v38, 16, v3
	v_sub_f32_e32 v39, v37, v38
	v_fmac_f32_e32 v38, s24, v39
	v_fma_f32 v37, -v31, v39, v37
	v_cndmask_b32_e64 v39, v37, v38, s[0:1]
	v_bfe_u32 v37, v39, 16, 1
	v_add3_u32 v40, v39, v37, s23
	v_mov_b32_e32 v38, s11
	v_add_co_u32_e32 v37, vcc, s10, v21
	v_addc_co_u32_e32 v38, vcc, v22, v38, vcc
	v_cmp_o_f32_e32 vcc, v39, v39
	v_cndmask_b32_sdwa v39, v36, v40, vcc dst_sel:DWORD dst_unused:UNUSED_PAD src0_sel:DWORD src1_sel:WORD_1
	global_store_short v[37:38], v39, off
	s_or_b64 exec, exec, s[8:9]
	s_and_saveexec_b64 s[8:9], s[2:3]
	s_cbranch_execz .LBB29_18
.LBB29_22:                              ;   in Loop: Header=BB29_9 Depth=1
	v_and_b32_e32 v37, 0xffff0000, v3
	v_and_b32_e32 v38, 0xffff0000, v1
	v_sub_f32_e32 v39, v38, v37
	v_fmac_f32_e32 v37, s24, v39
	v_fma_f32 v38, -v31, v39, v38
	v_cndmask_b32_e64 v37, v38, v37, s[0:1]
	v_bfe_u32 v38, v37, 16, 1
	v_add3_u32 v38, v37, v38, s23
	v_cmp_o_f32_e32 vcc, v37, v37
	v_cndmask_b32_sdwa v39, v36, v38, vcc dst_sel:DWORD dst_unused:UNUSED_PAD src0_sel:DWORD src1_sel:WORD_1
	v_mov_b32_e32 v38, s11
	v_add_co_u32_e32 v37, vcc, s10, v29
	v_addc_co_u32_e32 v38, vcc, v30, v38, vcc
	global_store_short v[37:38], v39, off
	s_or_b64 exec, exec, s[8:9]
	s_and_saveexec_b64 s[2:3], s[4:5]
	s_cbranch_execz .LBB29_19
.LBB29_23:                              ;   in Loop: Header=BB29_9 Depth=1
	v_alignbit_b32 v3, v4, v3, 16
	v_alignbit_b32 v1, v2, v1, 16
	v_and_b32_e32 v3, 0xffff0000, v3
	v_and_b32_e32 v1, 0xffff0000, v1
	v_sub_f32_e32 v37, v1, v3
	v_fmac_f32_e32 v3, s24, v37
	v_fma_f32 v1, -v31, v37, v1
	v_cndmask_b32_e64 v1, v1, v3, s[0:1]
	v_bfe_u32 v3, v1, 16, 1
	v_add3_u32 v3, v1, v3, s23
	v_cmp_o_f32_e32 vcc, v1, v1
	v_cndmask_b32_sdwa v1, v36, v3, vcc dst_sel:DWORD dst_unused:UNUSED_PAD src0_sel:DWORD src1_sel:WORD_1
	v_mov_b32_e32 v3, s11
	v_add_co_u32_e32 v37, vcc, s10, v15
	v_addc_co_u32_e32 v38, vcc, v16, v3, vcc
	global_store_short v[37:38], v1, off
	s_or_b64 exec, exec, s[2:3]
	s_and_saveexec_b64 s[2:3], s[6:7]
	s_cbranch_execz .LBB29_8
.LBB29_24:                              ;   in Loop: Header=BB29_9 Depth=1
	v_and_b32_e32 v1, 0xffff0000, v4
	v_and_b32_e32 v2, 0xffff0000, v2
	v_sub_f32_e32 v3, v2, v1
	v_fmac_f32_e32 v1, s24, v3
	v_fma_f32 v2, -v31, v3, v2
	v_cndmask_b32_e64 v1, v2, v1, s[0:1]
	v_bfe_u32 v2, v1, 16, 1
	v_add3_u32 v2, v1, v2, s23
	v_cmp_o_f32_e32 vcc, v1, v1
	v_cndmask_b32_sdwa v3, v36, v2, vcc dst_sel:DWORD dst_unused:UNUSED_PAD src0_sel:DWORD src1_sel:WORD_1
	v_mov_b32_e32 v2, s11
	v_add_co_u32_e32 v1, vcc, s10, v9
	v_addc_co_u32_e32 v2, vcc, v10, v2, vcc
	global_store_short v[1:2], v3, off
	s_branch .LBB29_8
.LBB29_25:
	s_endpgm
	.section	.rodata,"a",@progbits
	.p2align	6, 0x0
	.amdhsa_kernel _ZN2at6native12_GLOBAL__N_125multi_tensor_apply_kernelINS1_28TensorListScalarListMetadataIfLi3EEENS1_26TernaryOpScalarListFunctorIN3c108BFloat16ELi3ELi2ELi2EEEJNS0_11LerpFunctorIfEEEEEvT_T0_DpT1_
		.amdhsa_group_segment_fixed_size 0
		.amdhsa_private_segment_fixed_size 0
		.amdhsa_kernarg_size 3592
		.amdhsa_user_sgpr_count 6
		.amdhsa_user_sgpr_private_segment_buffer 1
		.amdhsa_user_sgpr_dispatch_ptr 0
		.amdhsa_user_sgpr_queue_ptr 0
		.amdhsa_user_sgpr_kernarg_segment_ptr 1
		.amdhsa_user_sgpr_dispatch_id 0
		.amdhsa_user_sgpr_flat_scratch_init 0
		.amdhsa_user_sgpr_private_segment_size 0
		.amdhsa_uses_dynamic_stack 0
		.amdhsa_system_sgpr_private_segment_wavefront_offset 0
		.amdhsa_system_sgpr_workgroup_id_x 1
		.amdhsa_system_sgpr_workgroup_id_y 0
		.amdhsa_system_sgpr_workgroup_id_z 0
		.amdhsa_system_sgpr_workgroup_info 0
		.amdhsa_system_vgpr_workitem_id 0
		.amdhsa_next_free_vgpr 41
		.amdhsa_next_free_sgpr 28
		.amdhsa_reserve_vcc 1
		.amdhsa_reserve_flat_scratch 0
		.amdhsa_float_round_mode_32 0
		.amdhsa_float_round_mode_16_64 0
		.amdhsa_float_denorm_mode_32 3
		.amdhsa_float_denorm_mode_16_64 3
		.amdhsa_dx10_clamp 1
		.amdhsa_ieee_mode 1
		.amdhsa_fp16_overflow 0
		.amdhsa_exception_fp_ieee_invalid_op 0
		.amdhsa_exception_fp_denorm_src 0
		.amdhsa_exception_fp_ieee_div_zero 0
		.amdhsa_exception_fp_ieee_overflow 0
		.amdhsa_exception_fp_ieee_underflow 0
		.amdhsa_exception_fp_ieee_inexact 0
		.amdhsa_exception_int_div_zero 0
	.end_amdhsa_kernel
	.section	.text._ZN2at6native12_GLOBAL__N_125multi_tensor_apply_kernelINS1_28TensorListScalarListMetadataIfLi3EEENS1_26TernaryOpScalarListFunctorIN3c108BFloat16ELi3ELi2ELi2EEEJNS0_11LerpFunctorIfEEEEEvT_T0_DpT1_,"axG",@progbits,_ZN2at6native12_GLOBAL__N_125multi_tensor_apply_kernelINS1_28TensorListScalarListMetadataIfLi3EEENS1_26TernaryOpScalarListFunctorIN3c108BFloat16ELi3ELi2ELi2EEEJNS0_11LerpFunctorIfEEEEEvT_T0_DpT1_,comdat
.Lfunc_end29:
	.size	_ZN2at6native12_GLOBAL__N_125multi_tensor_apply_kernelINS1_28TensorListScalarListMetadataIfLi3EEENS1_26TernaryOpScalarListFunctorIN3c108BFloat16ELi3ELi2ELi2EEEJNS0_11LerpFunctorIfEEEEEvT_T0_DpT1_, .Lfunc_end29-_ZN2at6native12_GLOBAL__N_125multi_tensor_apply_kernelINS1_28TensorListScalarListMetadataIfLi3EEENS1_26TernaryOpScalarListFunctorIN3c108BFloat16ELi3ELi2ELi2EEEJNS0_11LerpFunctorIfEEEEEvT_T0_DpT1_
                                        ; -- End function
	.set _ZN2at6native12_GLOBAL__N_125multi_tensor_apply_kernelINS1_28TensorListScalarListMetadataIfLi3EEENS1_26TernaryOpScalarListFunctorIN3c108BFloat16ELi3ELi2ELi2EEEJNS0_11LerpFunctorIfEEEEEvT_T0_DpT1_.num_vgpr, 41
	.set _ZN2at6native12_GLOBAL__N_125multi_tensor_apply_kernelINS1_28TensorListScalarListMetadataIfLi3EEENS1_26TernaryOpScalarListFunctorIN3c108BFloat16ELi3ELi2ELi2EEEJNS0_11LerpFunctorIfEEEEEvT_T0_DpT1_.num_agpr, 0
	.set _ZN2at6native12_GLOBAL__N_125multi_tensor_apply_kernelINS1_28TensorListScalarListMetadataIfLi3EEENS1_26TernaryOpScalarListFunctorIN3c108BFloat16ELi3ELi2ELi2EEEJNS0_11LerpFunctorIfEEEEEvT_T0_DpT1_.numbered_sgpr, 28
	.set _ZN2at6native12_GLOBAL__N_125multi_tensor_apply_kernelINS1_28TensorListScalarListMetadataIfLi3EEENS1_26TernaryOpScalarListFunctorIN3c108BFloat16ELi3ELi2ELi2EEEJNS0_11LerpFunctorIfEEEEEvT_T0_DpT1_.num_named_barrier, 0
	.set _ZN2at6native12_GLOBAL__N_125multi_tensor_apply_kernelINS1_28TensorListScalarListMetadataIfLi3EEENS1_26TernaryOpScalarListFunctorIN3c108BFloat16ELi3ELi2ELi2EEEJNS0_11LerpFunctorIfEEEEEvT_T0_DpT1_.private_seg_size, 0
	.set _ZN2at6native12_GLOBAL__N_125multi_tensor_apply_kernelINS1_28TensorListScalarListMetadataIfLi3EEENS1_26TernaryOpScalarListFunctorIN3c108BFloat16ELi3ELi2ELi2EEEJNS0_11LerpFunctorIfEEEEEvT_T0_DpT1_.uses_vcc, 1
	.set _ZN2at6native12_GLOBAL__N_125multi_tensor_apply_kernelINS1_28TensorListScalarListMetadataIfLi3EEENS1_26TernaryOpScalarListFunctorIN3c108BFloat16ELi3ELi2ELi2EEEJNS0_11LerpFunctorIfEEEEEvT_T0_DpT1_.uses_flat_scratch, 0
	.set _ZN2at6native12_GLOBAL__N_125multi_tensor_apply_kernelINS1_28TensorListScalarListMetadataIfLi3EEENS1_26TernaryOpScalarListFunctorIN3c108BFloat16ELi3ELi2ELi2EEEJNS0_11LerpFunctorIfEEEEEvT_T0_DpT1_.has_dyn_sized_stack, 0
	.set _ZN2at6native12_GLOBAL__N_125multi_tensor_apply_kernelINS1_28TensorListScalarListMetadataIfLi3EEENS1_26TernaryOpScalarListFunctorIN3c108BFloat16ELi3ELi2ELi2EEEJNS0_11LerpFunctorIfEEEEEvT_T0_DpT1_.has_recursion, 0
	.set _ZN2at6native12_GLOBAL__N_125multi_tensor_apply_kernelINS1_28TensorListScalarListMetadataIfLi3EEENS1_26TernaryOpScalarListFunctorIN3c108BFloat16ELi3ELi2ELi2EEEJNS0_11LerpFunctorIfEEEEEvT_T0_DpT1_.has_indirect_call, 0
	.section	.AMDGPU.csdata,"",@progbits
; Kernel info:
; codeLenInByte = 2324
; TotalNumSgprs: 32
; NumVgprs: 41
; ScratchSize: 0
; MemoryBound: 0
; FloatMode: 240
; IeeeMode: 1
; LDSByteSize: 0 bytes/workgroup (compile time only)
; SGPRBlocks: 3
; VGPRBlocks: 10
; NumSGPRsForWavesPerEU: 32
; NumVGPRsForWavesPerEU: 41
; Occupancy: 5
; WaveLimiterHint : 0
; COMPUTE_PGM_RSRC2:SCRATCH_EN: 0
; COMPUTE_PGM_RSRC2:USER_SGPR: 6
; COMPUTE_PGM_RSRC2:TRAP_HANDLER: 0
; COMPUTE_PGM_RSRC2:TGID_X_EN: 1
; COMPUTE_PGM_RSRC2:TGID_Y_EN: 0
; COMPUTE_PGM_RSRC2:TGID_Z_EN: 0
; COMPUTE_PGM_RSRC2:TIDIG_COMP_CNT: 0
	.section	.text._ZN2at6native12_GLOBAL__N_125multi_tensor_apply_kernelINS1_28TensorListScalarListMetadataIdLi2EEENS1_26TernaryOpScalarListFunctorIdLi2ELi2ELi0EEEJNS0_11LerpFunctorIdEEEEEvT_T0_DpT1_,"axG",@progbits,_ZN2at6native12_GLOBAL__N_125multi_tensor_apply_kernelINS1_28TensorListScalarListMetadataIdLi2EEENS1_26TernaryOpScalarListFunctorIdLi2ELi2ELi0EEEJNS0_11LerpFunctorIdEEEEEvT_T0_DpT1_,comdat
	.globl	_ZN2at6native12_GLOBAL__N_125multi_tensor_apply_kernelINS1_28TensorListScalarListMetadataIdLi2EEENS1_26TernaryOpScalarListFunctorIdLi2ELi2ELi0EEEJNS0_11LerpFunctorIdEEEEEvT_T0_DpT1_ ; -- Begin function _ZN2at6native12_GLOBAL__N_125multi_tensor_apply_kernelINS1_28TensorListScalarListMetadataIdLi2EEENS1_26TernaryOpScalarListFunctorIdLi2ELi2ELi0EEEJNS0_11LerpFunctorIdEEEEEvT_T0_DpT1_
	.p2align	8
	.type	_ZN2at6native12_GLOBAL__N_125multi_tensor_apply_kernelINS1_28TensorListScalarListMetadataIdLi2EEENS1_26TernaryOpScalarListFunctorIdLi2ELi2ELi0EEEJNS0_11LerpFunctorIdEEEEEvT_T0_DpT1_,@function
_ZN2at6native12_GLOBAL__N_125multi_tensor_apply_kernelINS1_28TensorListScalarListMetadataIdLi2EEENS1_26TernaryOpScalarListFunctorIdLi2ELi2ELi0EEEJNS0_11LerpFunctorIdEEEEEvT_T0_DpT1_: ; @_ZN2at6native12_GLOBAL__N_125multi_tensor_apply_kernelINS1_28TensorListScalarListMetadataIdLi2EEENS1_26TernaryOpScalarListFunctorIdLi2ELi2ELi0EEEJNS0_11LerpFunctorIdEEEEEvT_T0_DpT1_
; %bb.0:
	v_mov_b32_e32 v1, s6
	global_load_ubyte v1, v1, s[4:5] offset:2048
	s_add_u32 s0, s4, s6
	s_mul_hi_u32 s3, s6, 3
	s_mul_i32 s6, s6, 3
	s_addc_u32 s7, s5, 0
	s_add_u32 s2, s0, s6
	s_addc_u32 s3, s7, s3
	s_load_dword s8, s[2:3], 0x940
	s_mov_b32 s1, 0
	s_mov_b32 s15, s1
	s_waitcnt lgkmcnt(0)
	s_ashr_i32 s9, s8, 31
	s_lshl_b64 s[12:13], s[8:9], 19
	s_lshl_b64 s[8:9], s[8:9], 16
	s_waitcnt vmcnt(0)
	v_readfirstlane_b32 s0, v1
	s_lshl_b32 s0, s0, 3
	s_load_dwordx2 s[16:17], s[4:5], s0 offset:0x400
	s_load_dwordx2 s[2:3], s[4:5], s0 offset:0x0
	;; [unrolled: 1-line block ×4, first 2 shown]
	s_waitcnt lgkmcnt(0)
	s_add_u32 s0, s2, s12
	s_and_b32 s0, s0, 31
	s_and_b32 s14, s6, 31
	s_sub_u32 s8, s16, s8
	s_subb_u32 s9, s17, s9
	s_and_b32 s16, s16, 3
	s_mov_b32 s17, s1
	s_or_b64 s[14:15], s[14:15], s[16:17]
	s_or_b64 s[0:1], s[14:15], s[0:1]
	s_cmp_eq_u64 s[0:1], 0
	s_mov_b64 s[0:1], -1
	s_cbranch_scc0 .LBB30_5
; %bb.1:
	v_mov_b32_e32 v1, 0x10000
	v_mov_b32_e32 v2, 0
	v_cmp_lt_i64_e32 vcc, s[8:9], v[1:2]
	v_mov_b32_e32 v2, 0
	s_and_b64 s[0:1], vcc, exec
	s_cselect_b32 s15, s9, 0
	s_cselect_b32 s14, s8, 0x10000
	v_lshlrev_b32_e32 v1, 2, v0
	v_cmp_gt_i64_e32 vcc, s[14:15], v[1:2]
	s_and_saveexec_b64 s[16:17], vcc
	s_cbranch_execz .LBB30_4
; %bb.2:
	s_load_dword s0, s[4:5], 0xe54
	v_mov_b32_e32 v1, v2
	v_cmp_lt_f64_e64 vcc, |s[10:11]|, 0.5
	v_add_f64 v[2:3], -s[10:11], 1.0
	v_lshlrev_b32_e32 v4, 5, v0
	s_waitcnt lgkmcnt(0)
	s_and_b32 s20, s0, 0xffff
	v_mov_b32_e32 v5, s13
	v_add_co_u32_e64 v6, s[0:1], s12, v4
	v_addc_co_u32_e64 v7, s[0:1], 0, v5, s[0:1]
	v_mov_b32_e32 v5, v1
	s_lshl_b32 s21, s20, 5
	s_mov_b64 s[18:19], 0
	v_mov_b32_e32 v8, s3
	v_mov_b32_e32 v9, s7
	;; [unrolled: 1-line block ×3, first 2 shown]
.LBB30_3:                               ; =>This Inner Loop Header: Depth=1
	v_add_co_u32_e64 v26, s[0:1], s2, v6
	v_addc_co_u32_e64 v27, s[0:1], v8, v7, s[0:1]
	v_add_co_u32_e64 v28, s[0:1], s6, v6
	v_addc_co_u32_e64 v29, s[0:1], v9, v7, s[0:1]
	global_load_dwordx4 v[10:13], v[28:29], off
	global_load_dwordx4 v[14:17], v[26:27], off
	global_load_dwordx4 v[18:21], v[26:27], off offset:16
	global_load_dwordx4 v[22:25], v[28:29], off offset:16
	v_add_co_u32_e64 v4, s[0:1], s20, v4
	v_addc_co_u32_e64 v5, s[0:1], 0, v5, s[0:1]
	v_add_co_u32_e64 v6, s[0:1], s21, v6
	v_lshlrev_b64 v[28:29], 2, v[4:5]
	v_addc_co_u32_e64 v7, s[0:1], 0, v7, s[0:1]
	v_cmp_le_i64_e64 s[0:1], s[14:15], v[28:29]
	s_or_b64 s[18:19], s[0:1], s[18:19]
	s_waitcnt vmcnt(2)
	v_add_f64 v[28:29], v[10:11], -v[14:15]
	v_add_f64 v[30:31], v[12:13], -v[16:17]
	s_waitcnt vmcnt(0)
	v_add_f64 v[32:33], v[22:23], -v[18:19]
	v_add_f64 v[34:35], v[24:25], -v[20:21]
	v_fma_f64 v[14:15], s[10:11], v[28:29], v[14:15]
	v_fma_f64 v[10:11], -v[2:3], v[28:29], v[10:11]
	v_fma_f64 v[16:17], s[10:11], v[30:31], v[16:17]
	v_fma_f64 v[12:13], -v[2:3], v[30:31], v[12:13]
	;; [unrolled: 2-line block ×4, first 2 shown]
	v_cndmask_b32_e32 v11, v11, v15, vcc
	v_cndmask_b32_e32 v10, v10, v14, vcc
	;; [unrolled: 1-line block ×8, first 2 shown]
	global_store_dwordx4 v[26:27], v[10:13], off
	global_store_dwordx4 v[26:27], v[14:17], off offset:16
	s_andn2_b64 exec, exec, s[18:19]
	s_cbranch_execnz .LBB30_3
.LBB30_4:
	s_or_b64 exec, exec, s[16:17]
	s_mov_b64 s[0:1], 0
.LBB30_5:
	s_andn2_b64 vcc, exec, s[0:1]
	s_cbranch_vccnz .LBB30_25
; %bb.6:
	v_cmp_lt_i64_e64 s[0:1], s[8:9], 1
	s_and_b64 vcc, exec, s[0:1]
	s_cbranch_vccnz .LBB30_25
; %bb.7:
	v_mov_b32_e32 v1, 0x10000
	s_load_dword s4, s[4:5], 0xe54
	v_mov_b32_e32 v2, 0
	v_cmp_lt_i64_e32 vcc, s[8:9], v[1:2]
	v_mov_b32_e32 v3, 0
	s_and_b64 s[0:1], vcc, exec
	v_cmp_lt_u64_e32 vcc, s[8:9], v[1:2]
	s_cselect_b32 s15, s9, 0
	s_cselect_b32 s14, s8, 0x10000
	s_waitcnt lgkmcnt(0)
	s_and_b32 s18, s4, 0xffff
	v_lshlrev_b32_e32 v2, 3, v0
	s_and_b64 s[0:1], vcc, exec
	v_mov_b32_e32 v1, s3
	v_add_co_u32_e32 v19, vcc, s2, v2
	v_mad_u64_u32 v[3:4], s[4:5], s18, 24, v[2:3]
	v_addc_co_u32_e32 v20, vcc, 0, v1, vcc
	v_mov_b32_e32 v1, s7
	v_add_co_u32_e32 v21, vcc, s6, v2
	v_addc_co_u32_e32 v22, vcc, 0, v1, vcc
	v_mov_b32_e32 v1, s3
	v_add_co_u32_e32 v23, vcc, s2, v3
	;; [unrolled: 3-line block ×3, first 2 shown]
	s_cselect_b32 s17, s9, 0
	s_cselect_b32 s16, s8, 0x10000
	v_addc_co_u32_e32 v26, vcc, v1, v4, vcc
	s_lshl_b32 s4, s18, 4
	v_add_co_u32_e32 v1, vcc, s4, v2
	v_addc_co_u32_e64 v2, s[4:5], 0, 0, vcc
	v_mov_b32_e32 v3, s3
	v_add_co_u32_e32 v27, vcc, s2, v1
	v_addc_co_u32_e32 v28, vcc, v3, v2, vcc
	v_mov_b32_e32 v3, s7
	v_add_co_u32_e32 v29, vcc, s6, v1
	v_addc_co_u32_e32 v30, vcc, v3, v2, vcc
	v_add_co_u32_e32 v31, vcc, s18, v0
	v_lshlrev_b32_e32 v1, 3, v31
	v_addc_co_u32_e64 v32, s[4:5], 0, 0, vcc
	v_mov_b32_e32 v2, s3
	v_add_co_u32_e32 v33, vcc, s2, v1
	v_addc_co_u32_e32 v34, vcc, 0, v2, vcc
	v_mov_b32_e32 v2, s7
	v_add_co_u32_e32 v35, vcc, s6, v1
	v_cmp_lt_f64_e64 s[0:1], |s[10:11]|, 0.5
	v_addc_co_u32_e32 v36, vcc, 0, v2, vcc
	v_add_f64 v[1:2], -s[10:11], 1.0
	s_mul_i32 s9, s18, 3
	s_lshl_b32 s8, s18, 1
	v_add_co_u32_e32 v37, vcc, s9, v0
	v_addc_co_u32_e64 v38, s[2:3], 0, 0, vcc
	v_add_co_u32_e32 v39, vcc, s8, v0
	s_lshl_b32 s22, s18, 2
	s_lshl_b32 s23, s18, 5
	s_mov_b64 s[18:19], 0
	v_addc_co_u32_e64 v40, s[2:3], 0, 0, vcc
	s_branch .LBB30_9
.LBB30_8:                               ;   in Loop: Header=BB30_9 Depth=1
	s_or_b64 exec, exec, s[2:3]
	v_add_co_u32_e32 v19, vcc, s23, v19
	v_addc_co_u32_e32 v20, vcc, 0, v20, vcc
	v_add_co_u32_e32 v21, vcc, s23, v21
	v_addc_co_u32_e32 v22, vcc, 0, v22, vcc
	;; [unrolled: 2-line block ×6, first 2 shown]
	s_add_u32 s18, s18, s22
	v_add_co_u32_e32 v33, vcc, s23, v33
	s_waitcnt vmcnt(0)
	v_mov_b32_e32 v3, s14
	s_addc_u32 s19, s19, 0
	v_addc_co_u32_e32 v34, vcc, 0, v34, vcc
	v_mov_b32_e32 v4, s15
	v_cmp_ge_i64_e32 vcc, s[18:19], v[3:4]
	v_add_co_u32_e64 v35, s[2:3], s23, v35
	v_addc_co_u32_e64 v36, s[2:3], 0, v36, s[2:3]
	s_cbranch_vccnz .LBB30_25
.LBB30_9:                               ; =>This Inner Loop Header: Depth=1
	v_mov_b32_e32 v4, s19
	v_add_co_u32_e32 v3, vcc, s18, v0
	v_addc_co_u32_e32 v4, vcc, 0, v4, vcc
	v_cmp_gt_u64_e32 vcc, s[16:17], v[3:4]
	v_mov_b32_e32 v3, 0
	v_mov_b32_e32 v7, 0
	;; [unrolled: 1-line block ×6, first 2 shown]
	s_and_saveexec_b64 s[4:5], vcc
	s_cbranch_execz .LBB30_11
; %bb.10:                               ;   in Loop: Header=BB30_9 Depth=1
	v_mov_b32_e32 v7, s13
	v_add_co_u32_e64 v5, s[2:3], s12, v21
	v_addc_co_u32_e64 v6, s[2:3], v22, v7, s[2:3]
	v_add_co_u32_e64 v11, s[2:3], s12, v19
	v_addc_co_u32_e64 v12, s[2:3], v20, v7, s[2:3]
	global_load_dwordx2 v[9:10], v[11:12], off
	global_load_dwordx2 v[7:8], v[5:6], off
.LBB30_11:                              ;   in Loop: Header=BB30_9 Depth=1
	s_or_b64 exec, exec, s[4:5]
	v_mov_b32_e32 v6, s19
	v_add_co_u32_e64 v5, s[2:3], s18, v31
	v_addc_co_u32_e64 v6, s[2:3], v32, v6, s[2:3]
	v_cmp_gt_u64_e64 s[2:3], s[16:17], v[5:6]
	v_mov_b32_e32 v11, 0
	v_mov_b32_e32 v12, 0
	s_and_saveexec_b64 s[6:7], s[2:3]
	s_cbranch_execz .LBB30_13
; %bb.12:                               ;   in Loop: Header=BB30_9 Depth=1
	v_mov_b32_e32 v3, s13
	v_add_co_u32_e64 v5, s[4:5], s12, v35
	v_addc_co_u32_e64 v6, s[4:5], v36, v3, s[4:5]
	v_add_co_u32_e64 v13, s[4:5], s12, v33
	v_addc_co_u32_e64 v14, s[4:5], v34, v3, s[4:5]
	global_load_dwordx2 v[11:12], v[13:14], off
	global_load_dwordx2 v[3:4], v[5:6], off
.LBB30_13:                              ;   in Loop: Header=BB30_9 Depth=1
	s_or_b64 exec, exec, s[6:7]
	v_mov_b32_e32 v6, s19
	v_add_co_u32_e64 v5, s[4:5], s18, v39
	v_addc_co_u32_e64 v6, s[4:5], v40, v6, s[4:5]
	v_cmp_gt_u64_e64 s[4:5], s[16:17], v[5:6]
	v_mov_b32_e32 v5, 0
	v_mov_b32_e32 v13, 0
	;; [unrolled: 1-line block ×6, first 2 shown]
	s_and_saveexec_b64 s[8:9], s[4:5]
	s_cbranch_execz .LBB30_15
; %bb.14:                               ;   in Loop: Header=BB30_9 Depth=1
	v_mov_b32_e32 v13, s13
	v_add_co_u32_e64 v17, s[6:7], s12, v29
	v_addc_co_u32_e64 v18, s[6:7], v30, v13, s[6:7]
	v_add_co_u32_e64 v41, s[6:7], s12, v27
	v_addc_co_u32_e64 v42, s[6:7], v28, v13, s[6:7]
	global_load_dwordx2 v[15:16], v[41:42], off
	global_load_dwordx2 v[13:14], v[17:18], off
.LBB30_15:                              ;   in Loop: Header=BB30_9 Depth=1
	s_or_b64 exec, exec, s[8:9]
	v_mov_b32_e32 v18, s19
	v_add_co_u32_e64 v17, s[6:7], s18, v37
	v_addc_co_u32_e64 v18, s[6:7], v38, v18, s[6:7]
	v_cmp_gt_u64_e64 s[6:7], s[16:17], v[17:18]
	v_mov_b32_e32 v17, 0
	v_mov_b32_e32 v18, 0
	s_and_saveexec_b64 s[20:21], s[6:7]
	s_cbranch_execnz .LBB30_20
; %bb.16:                               ;   in Loop: Header=BB30_9 Depth=1
	s_or_b64 exec, exec, s[20:21]
	s_and_saveexec_b64 s[8:9], vcc
	s_cbranch_execnz .LBB30_21
.LBB30_17:                              ;   in Loop: Header=BB30_9 Depth=1
	s_or_b64 exec, exec, s[8:9]
	s_and_saveexec_b64 s[8:9], s[2:3]
	s_cbranch_execnz .LBB30_22
.LBB30_18:                              ;   in Loop: Header=BB30_9 Depth=1
	s_or_b64 exec, exec, s[8:9]
	s_and_saveexec_b64 s[2:3], s[4:5]
	s_cbranch_execnz .LBB30_23
.LBB30_19:                              ;   in Loop: Header=BB30_9 Depth=1
	s_or_b64 exec, exec, s[2:3]
	s_and_saveexec_b64 s[2:3], s[6:7]
	s_cbranch_execz .LBB30_8
	s_branch .LBB30_24
.LBB30_20:                              ;   in Loop: Header=BB30_9 Depth=1
	v_mov_b32_e32 v5, s13
	v_add_co_u32_e64 v41, s[8:9], s12, v25
	v_addc_co_u32_e64 v42, s[8:9], v26, v5, s[8:9]
	v_add_co_u32_e64 v43, s[8:9], s12, v23
	v_addc_co_u32_e64 v44, s[8:9], v24, v5, s[8:9]
	global_load_dwordx2 v[17:18], v[43:44], off
	global_load_dwordx2 v[5:6], v[41:42], off
	s_or_b64 exec, exec, s[20:21]
	s_and_saveexec_b64 s[8:9], vcc
	s_cbranch_execz .LBB30_17
.LBB30_21:                              ;   in Loop: Header=BB30_9 Depth=1
	s_waitcnt vmcnt(0)
	v_add_f64 v[41:42], v[7:8], -v[9:10]
	v_fma_f64 v[9:10], s[10:11], v[41:42], v[9:10]
	v_fma_f64 v[7:8], -v[1:2], v[41:42], v[7:8]
	v_mov_b32_e32 v41, s13
	v_cndmask_b32_e64 v7, v7, v9, s[0:1]
	v_add_co_u32_e32 v9, vcc, s12, v19
	v_cndmask_b32_e64 v8, v8, v10, s[0:1]
	v_addc_co_u32_e32 v10, vcc, v20, v41, vcc
	global_store_dwordx2 v[9:10], v[7:8], off
	s_or_b64 exec, exec, s[8:9]
	s_and_saveexec_b64 s[8:9], s[2:3]
	s_cbranch_execz .LBB30_18
.LBB30_22:                              ;   in Loop: Header=BB30_9 Depth=1
	s_waitcnt vmcnt(0)
	v_add_f64 v[7:8], v[3:4], -v[11:12]
	v_fma_f64 v[9:10], s[10:11], v[7:8], v[11:12]
	v_fma_f64 v[3:4], -v[1:2], v[7:8], v[3:4]
	v_mov_b32_e32 v8, s13
	v_add_co_u32_e32 v7, vcc, s12, v33
	v_addc_co_u32_e32 v8, vcc, v34, v8, vcc
	v_cndmask_b32_e64 v4, v4, v10, s[0:1]
	v_cndmask_b32_e64 v3, v3, v9, s[0:1]
	global_store_dwordx2 v[7:8], v[3:4], off
	s_or_b64 exec, exec, s[8:9]
	s_and_saveexec_b64 s[2:3], s[4:5]
	s_cbranch_execz .LBB30_19
.LBB30_23:                              ;   in Loop: Header=BB30_9 Depth=1
	s_waitcnt vmcnt(0)
	v_add_f64 v[3:4], v[13:14], -v[15:16]
	v_mov_b32_e32 v9, s13
	v_fma_f64 v[7:8], s[10:11], v[3:4], v[15:16]
	v_fma_f64 v[3:4], -v[1:2], v[3:4], v[13:14]
	v_cndmask_b32_e64 v3, v3, v7, s[0:1]
	v_add_co_u32_e32 v7, vcc, s12, v27
	v_cndmask_b32_e64 v4, v4, v8, s[0:1]
	v_addc_co_u32_e32 v8, vcc, v28, v9, vcc
	global_store_dwordx2 v[7:8], v[3:4], off
	s_or_b64 exec, exec, s[2:3]
	s_and_saveexec_b64 s[2:3], s[6:7]
	s_cbranch_execz .LBB30_8
.LBB30_24:                              ;   in Loop: Header=BB30_9 Depth=1
	s_waitcnt vmcnt(0)
	v_add_f64 v[3:4], v[5:6], -v[17:18]
	v_fma_f64 v[7:8], s[10:11], v[3:4], v[17:18]
	v_fma_f64 v[3:4], -v[1:2], v[3:4], v[5:6]
	v_mov_b32_e32 v6, s13
	v_add_co_u32_e32 v5, vcc, s12, v23
	v_addc_co_u32_e32 v6, vcc, v24, v6, vcc
	v_cndmask_b32_e64 v4, v4, v8, s[0:1]
	v_cndmask_b32_e64 v3, v3, v7, s[0:1]
	global_store_dwordx2 v[5:6], v[3:4], off
	s_branch .LBB30_8
.LBB30_25:
	s_endpgm
	.section	.rodata,"a",@progbits
	.p2align	6, 0x0
	.amdhsa_kernel _ZN2at6native12_GLOBAL__N_125multi_tensor_apply_kernelINS1_28TensorListScalarListMetadataIdLi2EEENS1_26TernaryOpScalarListFunctorIdLi2ELi2ELi0EEEJNS0_11LerpFunctorIdEEEEEvT_T0_DpT1_
		.amdhsa_group_segment_fixed_size 0
		.amdhsa_private_segment_fixed_size 0
		.amdhsa_kernarg_size 3912
		.amdhsa_user_sgpr_count 6
		.amdhsa_user_sgpr_private_segment_buffer 1
		.amdhsa_user_sgpr_dispatch_ptr 0
		.amdhsa_user_sgpr_queue_ptr 0
		.amdhsa_user_sgpr_kernarg_segment_ptr 1
		.amdhsa_user_sgpr_dispatch_id 0
		.amdhsa_user_sgpr_flat_scratch_init 0
		.amdhsa_user_sgpr_private_segment_size 0
		.amdhsa_uses_dynamic_stack 0
		.amdhsa_system_sgpr_private_segment_wavefront_offset 0
		.amdhsa_system_sgpr_workgroup_id_x 1
		.amdhsa_system_sgpr_workgroup_id_y 0
		.amdhsa_system_sgpr_workgroup_id_z 0
		.amdhsa_system_sgpr_workgroup_info 0
		.amdhsa_system_vgpr_workitem_id 0
		.amdhsa_next_free_vgpr 45
		.amdhsa_next_free_sgpr 24
		.amdhsa_reserve_vcc 1
		.amdhsa_reserve_flat_scratch 0
		.amdhsa_float_round_mode_32 0
		.amdhsa_float_round_mode_16_64 0
		.amdhsa_float_denorm_mode_32 3
		.amdhsa_float_denorm_mode_16_64 3
		.amdhsa_dx10_clamp 1
		.amdhsa_ieee_mode 1
		.amdhsa_fp16_overflow 0
		.amdhsa_exception_fp_ieee_invalid_op 0
		.amdhsa_exception_fp_denorm_src 0
		.amdhsa_exception_fp_ieee_div_zero 0
		.amdhsa_exception_fp_ieee_overflow 0
		.amdhsa_exception_fp_ieee_underflow 0
		.amdhsa_exception_fp_ieee_inexact 0
		.amdhsa_exception_int_div_zero 0
	.end_amdhsa_kernel
	.section	.text._ZN2at6native12_GLOBAL__N_125multi_tensor_apply_kernelINS1_28TensorListScalarListMetadataIdLi2EEENS1_26TernaryOpScalarListFunctorIdLi2ELi2ELi0EEEJNS0_11LerpFunctorIdEEEEEvT_T0_DpT1_,"axG",@progbits,_ZN2at6native12_GLOBAL__N_125multi_tensor_apply_kernelINS1_28TensorListScalarListMetadataIdLi2EEENS1_26TernaryOpScalarListFunctorIdLi2ELi2ELi0EEEJNS0_11LerpFunctorIdEEEEEvT_T0_DpT1_,comdat
.Lfunc_end30:
	.size	_ZN2at6native12_GLOBAL__N_125multi_tensor_apply_kernelINS1_28TensorListScalarListMetadataIdLi2EEENS1_26TernaryOpScalarListFunctorIdLi2ELi2ELi0EEEJNS0_11LerpFunctorIdEEEEEvT_T0_DpT1_, .Lfunc_end30-_ZN2at6native12_GLOBAL__N_125multi_tensor_apply_kernelINS1_28TensorListScalarListMetadataIdLi2EEENS1_26TernaryOpScalarListFunctorIdLi2ELi2ELi0EEEJNS0_11LerpFunctorIdEEEEEvT_T0_DpT1_
                                        ; -- End function
	.set _ZN2at6native12_GLOBAL__N_125multi_tensor_apply_kernelINS1_28TensorListScalarListMetadataIdLi2EEENS1_26TernaryOpScalarListFunctorIdLi2ELi2ELi0EEEJNS0_11LerpFunctorIdEEEEEvT_T0_DpT1_.num_vgpr, 45
	.set _ZN2at6native12_GLOBAL__N_125multi_tensor_apply_kernelINS1_28TensorListScalarListMetadataIdLi2EEENS1_26TernaryOpScalarListFunctorIdLi2ELi2ELi0EEEJNS0_11LerpFunctorIdEEEEEvT_T0_DpT1_.num_agpr, 0
	.set _ZN2at6native12_GLOBAL__N_125multi_tensor_apply_kernelINS1_28TensorListScalarListMetadataIdLi2EEENS1_26TernaryOpScalarListFunctorIdLi2ELi2ELi0EEEJNS0_11LerpFunctorIdEEEEEvT_T0_DpT1_.numbered_sgpr, 24
	.set _ZN2at6native12_GLOBAL__N_125multi_tensor_apply_kernelINS1_28TensorListScalarListMetadataIdLi2EEENS1_26TernaryOpScalarListFunctorIdLi2ELi2ELi0EEEJNS0_11LerpFunctorIdEEEEEvT_T0_DpT1_.num_named_barrier, 0
	.set _ZN2at6native12_GLOBAL__N_125multi_tensor_apply_kernelINS1_28TensorListScalarListMetadataIdLi2EEENS1_26TernaryOpScalarListFunctorIdLi2ELi2ELi0EEEJNS0_11LerpFunctorIdEEEEEvT_T0_DpT1_.private_seg_size, 0
	.set _ZN2at6native12_GLOBAL__N_125multi_tensor_apply_kernelINS1_28TensorListScalarListMetadataIdLi2EEENS1_26TernaryOpScalarListFunctorIdLi2ELi2ELi0EEEJNS0_11LerpFunctorIdEEEEEvT_T0_DpT1_.uses_vcc, 1
	.set _ZN2at6native12_GLOBAL__N_125multi_tensor_apply_kernelINS1_28TensorListScalarListMetadataIdLi2EEENS1_26TernaryOpScalarListFunctorIdLi2ELi2ELi0EEEJNS0_11LerpFunctorIdEEEEEvT_T0_DpT1_.uses_flat_scratch, 0
	.set _ZN2at6native12_GLOBAL__N_125multi_tensor_apply_kernelINS1_28TensorListScalarListMetadataIdLi2EEENS1_26TernaryOpScalarListFunctorIdLi2ELi2ELi0EEEJNS0_11LerpFunctorIdEEEEEvT_T0_DpT1_.has_dyn_sized_stack, 0
	.set _ZN2at6native12_GLOBAL__N_125multi_tensor_apply_kernelINS1_28TensorListScalarListMetadataIdLi2EEENS1_26TernaryOpScalarListFunctorIdLi2ELi2ELi0EEEJNS0_11LerpFunctorIdEEEEEvT_T0_DpT1_.has_recursion, 0
	.set _ZN2at6native12_GLOBAL__N_125multi_tensor_apply_kernelINS1_28TensorListScalarListMetadataIdLi2EEENS1_26TernaryOpScalarListFunctorIdLi2ELi2ELi0EEEJNS0_11LerpFunctorIdEEEEEvT_T0_DpT1_.has_indirect_call, 0
	.section	.AMDGPU.csdata,"",@progbits
; Kernel info:
; codeLenInByte = 1776
; TotalNumSgprs: 28
; NumVgprs: 45
; ScratchSize: 0
; MemoryBound: 0
; FloatMode: 240
; IeeeMode: 1
; LDSByteSize: 0 bytes/workgroup (compile time only)
; SGPRBlocks: 3
; VGPRBlocks: 11
; NumSGPRsForWavesPerEU: 28
; NumVGPRsForWavesPerEU: 45
; Occupancy: 5
; WaveLimiterHint : 1
; COMPUTE_PGM_RSRC2:SCRATCH_EN: 0
; COMPUTE_PGM_RSRC2:USER_SGPR: 6
; COMPUTE_PGM_RSRC2:TRAP_HANDLER: 0
; COMPUTE_PGM_RSRC2:TGID_X_EN: 1
; COMPUTE_PGM_RSRC2:TGID_Y_EN: 0
; COMPUTE_PGM_RSRC2:TGID_Z_EN: 0
; COMPUTE_PGM_RSRC2:TIDIG_COMP_CNT: 0
	.section	.text._ZN2at6native12_GLOBAL__N_125multi_tensor_apply_kernelINS1_28TensorListScalarListMetadataIfLi2EEENS1_26TernaryOpScalarListFunctorIfLi2ELi2ELi0EEEJNS0_11LerpFunctorIfEEEEEvT_T0_DpT1_,"axG",@progbits,_ZN2at6native12_GLOBAL__N_125multi_tensor_apply_kernelINS1_28TensorListScalarListMetadataIfLi2EEENS1_26TernaryOpScalarListFunctorIfLi2ELi2ELi0EEEJNS0_11LerpFunctorIfEEEEEvT_T0_DpT1_,comdat
	.globl	_ZN2at6native12_GLOBAL__N_125multi_tensor_apply_kernelINS1_28TensorListScalarListMetadataIfLi2EEENS1_26TernaryOpScalarListFunctorIfLi2ELi2ELi0EEEJNS0_11LerpFunctorIfEEEEEvT_T0_DpT1_ ; -- Begin function _ZN2at6native12_GLOBAL__N_125multi_tensor_apply_kernelINS1_28TensorListScalarListMetadataIfLi2EEENS1_26TernaryOpScalarListFunctorIfLi2ELi2ELi0EEEJNS0_11LerpFunctorIfEEEEEvT_T0_DpT1_
	.p2align	8
	.type	_ZN2at6native12_GLOBAL__N_125multi_tensor_apply_kernelINS1_28TensorListScalarListMetadataIfLi2EEENS1_26TernaryOpScalarListFunctorIfLi2ELi2ELi0EEEJNS0_11LerpFunctorIfEEEEEvT_T0_DpT1_,@function
_ZN2at6native12_GLOBAL__N_125multi_tensor_apply_kernelINS1_28TensorListScalarListMetadataIfLi2EEENS1_26TernaryOpScalarListFunctorIfLi2ELi2ELi0EEEJNS0_11LerpFunctorIfEEEEEvT_T0_DpT1_: ; @_ZN2at6native12_GLOBAL__N_125multi_tensor_apply_kernelINS1_28TensorListScalarListMetadataIfLi2EEENS1_26TernaryOpScalarListFunctorIfLi2ELi2ELi0EEEJNS0_11LerpFunctorIfEEEEEvT_T0_DpT1_
; %bb.0:
	v_mov_b32_e32 v1, s6
	global_load_ubyte v1, v1, s[4:5] offset:1792
	s_add_u32 s0, s4, s6
	s_mul_hi_u32 s3, s6, 3
	s_mul_i32 s6, s6, 3
	s_addc_u32 s7, s5, 0
	s_add_u32 s2, s0, s6
	s_addc_u32 s3, s7, s3
	s_load_dword s8, s[2:3], 0x840
	s_mov_b32 s1, 0
	s_mov_b32 s13, s1
	v_mov_b32_e32 v2, 0
	s_waitcnt lgkmcnt(0)
	s_ashr_i32 s9, s8, 31
	s_waitcnt vmcnt(0)
	v_readfirstlane_b32 s0, v1
	v_lshlrev_b32_e32 v1, 2, v1
	v_sub_co_u32_e32 v1, vcc, 0, v1
	s_lshl_b32 s0, s0, 3
	v_subb_co_u32_e64 v3, s[2:3], 0, 0, vcc
	s_load_dwordx2 s[14:15], s[4:5], s0 offset:0x400
	s_load_dwordx2 s[6:7], s[4:5], s0 offset:0x0
	;; [unrolled: 1-line block ×3, first 2 shown]
	s_add_u32 s0, s4, s0
	s_addc_u32 s12, s5, 0
	s_lshl_b64 s[10:11], s[8:9], 18
	v_mov_b32_e32 v4, s12
	v_add_co_u32_e32 v1, vcc, s0, v1
	v_addc_co_u32_e32 v3, vcc, v4, v3, vcc
	s_waitcnt lgkmcnt(0)
	s_add_u32 s0, s6, s10
	s_lshl_b64 s[8:9], s[8:9], 16
	v_readfirstlane_b32 s16, v1
	s_and_b32 s12, s2, 15
	v_readfirstlane_b32 s17, v3
	s_and_b32 s0, s0, 15
	s_load_dword s20, s[16:17], 0x600
	s_sub_u32 s8, s14, s8
	s_subb_u32 s9, s15, s9
	s_and_b32 s14, s14, 3
	s_mov_b32 s15, s1
	s_or_b64 s[12:13], s[12:13], s[14:15]
	s_or_b64 s[0:1], s[12:13], s[0:1]
	s_cmp_eq_u64 s[0:1], 0
	s_mov_b64 s[0:1], -1
	s_cbranch_scc0 .LBB31_5
; %bb.1:
	v_mov_b32_e32 v3, 0x10000
	v_mov_b32_e32 v4, 0
	v_cmp_lt_i64_e32 vcc, s[8:9], v[3:4]
	v_lshlrev_b32_e32 v1, 2, v0
	s_and_b64 s[0:1], vcc, exec
	s_cselect_b32 s13, s9, 0
	s_cselect_b32 s12, s8, 0x10000
	v_cmp_gt_i64_e32 vcc, s[12:13], v[1:2]
	s_and_saveexec_b64 s[14:15], vcc
	s_cbranch_execz .LBB31_4
; %bb.2:
	s_load_dword s0, s[4:5], 0xd54
	v_mov_b32_e32 v1, v2
	v_lshlrev_b32_e32 v2, 4, v0
	v_mov_b32_e32 v5, s11
	s_waitcnt lgkmcnt(0)
	v_cmp_lt_f32_e64 vcc, |s20|, 0.5
	s_and_b32 s18, s0, 0xffff
	v_add_co_u32_e64 v4, s[0:1], s10, v2
	v_mov_b32_e32 v2, v1
	v_sub_f32_e64 v3, 1.0, s20
	v_addc_co_u32_e64 v5, s[0:1], 0, v5, s[0:1]
	s_lshl_b32 s19, s18, 4
	s_mov_b64 s[16:17], 0
	v_mov_b32_e32 v6, s7
	v_mov_b32_e32 v7, s3
	;; [unrolled: 1-line block ×3, first 2 shown]
.LBB31_3:                               ; =>This Inner Loop Header: Depth=1
	v_add_co_u32_e64 v16, s[0:1], s6, v4
	v_addc_co_u32_e64 v17, s[0:1], v6, v5, s[0:1]
	v_add_co_u32_e64 v18, s[0:1], s2, v4
	v_addc_co_u32_e64 v19, s[0:1], v7, v5, s[0:1]
	global_load_dwordx4 v[8:11], v[16:17], off
	global_load_dwordx4 v[12:15], v[18:19], off
	v_add_co_u32_e64 v1, s[0:1], s18, v1
	v_addc_co_u32_e64 v2, s[0:1], 0, v2, s[0:1]
	v_add_co_u32_e64 v4, s[0:1], s19, v4
	v_lshlrev_b64 v[18:19], 2, v[1:2]
	v_addc_co_u32_e64 v5, s[0:1], 0, v5, s[0:1]
	v_cmp_le_i64_e64 s[0:1], s[12:13], v[18:19]
	s_or_b64 s[16:17], s[0:1], s[16:17]
	s_waitcnt vmcnt(0)
	v_sub_f32_e32 v18, v12, v8
	v_sub_f32_e32 v19, v13, v9
	;; [unrolled: 1-line block ×4, first 2 shown]
	v_fma_f32 v12, -v3, v18, v12
	v_fma_f32 v13, -v3, v19, v13
	;; [unrolled: 1-line block ×4, first 2 shown]
	v_fma_f32 v8, s20, v18, v8
	v_fma_f32 v9, s20, v19, v9
	v_fmac_f32_e32 v11, s20, v21
	v_fma_f32 v10, s20, v20, v10
	v_cndmask_b32_e32 v8, v12, v8, vcc
	v_cndmask_b32_e32 v9, v13, v9, vcc
	v_cndmask_b32_e32 v10, v14, v10, vcc
	v_cndmask_b32_e32 v11, v15, v11, vcc
	global_store_dwordx4 v[16:17], v[8:11], off
	s_andn2_b64 exec, exec, s[16:17]
	s_cbranch_execnz .LBB31_3
.LBB31_4:
	s_or_b64 exec, exec, s[14:15]
	s_mov_b64 s[0:1], 0
.LBB31_5:
	s_andn2_b64 vcc, exec, s[0:1]
	s_cbranch_vccnz .LBB31_25
; %bb.6:
	v_cmp_lt_i64_e64 s[0:1], s[8:9], 1
	s_and_b64 vcc, exec, s[0:1]
	s_cbranch_vccnz .LBB31_25
; %bb.7:
	v_mov_b32_e32 v1, 0x10000
	s_load_dword s4, s[4:5], 0xd54
	v_mov_b32_e32 v2, 0
	v_cmp_lt_i64_e32 vcc, s[8:9], v[1:2]
	v_mov_b32_e32 v10, 0
	s_and_b64 s[0:1], vcc, exec
	v_cmp_lt_u64_e32 vcc, s[8:9], v[1:2]
	s_cselect_b32 s13, s9, 0
	s_cselect_b32 s12, s8, 0x10000
	s_waitcnt lgkmcnt(0)
	s_and_b32 s16, s4, 0xffff
	v_lshlrev_b32_e32 v9, 2, v0
	s_and_b64 s[0:1], vcc, exec
	v_mov_b32_e32 v2, s7
	v_add_co_u32_e32 v1, vcc, s6, v9
	v_mad_u64_u32 v[7:8], s[4:5], s16, 12, v[9:10]
	v_addc_co_u32_e32 v2, vcc, 0, v2, vcc
	v_mov_b32_e32 v4, s3
	v_add_co_u32_e32 v3, vcc, s2, v9
	v_addc_co_u32_e32 v4, vcc, 0, v4, vcc
	v_mov_b32_e32 v6, s7
	v_add_co_u32_e32 v5, vcc, s6, v7
	;; [unrolled: 3-line block ×3, first 2 shown]
	s_cselect_b32 s15, s9, 0
	s_cselect_b32 s14, s8, 0x10000
	v_addc_co_u32_e32 v8, vcc, v10, v8, vcc
	s_lshl_b32 s4, s16, 3
	v_add_co_u32_e32 v11, vcc, s4, v9
	v_addc_co_u32_e64 v12, s[4:5], 0, 0, vcc
	v_mov_b32_e32 v10, s7
	v_add_co_u32_e32 v9, vcc, s6, v11
	v_addc_co_u32_e32 v10, vcc, v10, v12, vcc
	v_mov_b32_e32 v13, s3
	v_add_co_u32_e32 v11, vcc, s2, v11
	v_addc_co_u32_e32 v12, vcc, v13, v12, vcc
	v_add_co_u32_e32 v13, vcc, s16, v0
	v_lshlrev_b32_e32 v17, 2, v13
	v_addc_co_u32_e64 v14, s[4:5], 0, 0, vcc
	v_mov_b32_e32 v16, s7
	v_add_co_u32_e32 v15, vcc, s6, v17
	v_addc_co_u32_e32 v16, vcc, 0, v16, vcc
	v_mov_b32_e32 v18, s3
	v_add_co_u32_e32 v17, vcc, s2, v17
	s_mul_i32 s9, s16, 3
	v_addc_co_u32_e32 v18, vcc, 0, v18, vcc
	s_lshl_b32 s8, s16, 1
	v_add_co_u32_e32 v20, vcc, s9, v0
	v_addc_co_u32_e64 v21, s[2:3], 0, 0, vcc
	v_add_co_u32_e32 v22, vcc, s8, v0
	v_cmp_lt_f32_e64 s[0:1], |s20|, 0.5
	s_lshl_b32 s21, s16, 2
	s_lshl_b32 s22, s16, 4
	s_mov_b64 s[16:17], 0
	v_sub_f32_e64 v19, 1.0, s20
	v_addc_co_u32_e64 v23, s[2:3], 0, 0, vcc
	s_branch .LBB31_9
.LBB31_8:                               ;   in Loop: Header=BB31_9 Depth=1
	s_or_b64 exec, exec, s[2:3]
	v_add_co_u32_e32 v1, vcc, s22, v1
	v_addc_co_u32_e32 v2, vcc, 0, v2, vcc
	v_add_co_u32_e32 v3, vcc, s22, v3
	v_addc_co_u32_e32 v4, vcc, 0, v4, vcc
	;; [unrolled: 2-line block ×6, first 2 shown]
	s_add_u32 s16, s16, s21
	v_add_co_u32_e32 v15, vcc, s22, v15
	s_waitcnt vmcnt(0)
	v_mov_b32_e32 v25, s13
	s_addc_u32 s17, s17, 0
	v_addc_co_u32_e32 v16, vcc, 0, v16, vcc
	v_mov_b32_e32 v24, s12
	v_cmp_ge_i64_e32 vcc, s[16:17], v[24:25]
	v_add_co_u32_e64 v17, s[2:3], s22, v17
	v_addc_co_u32_e64 v18, s[2:3], 0, v18, s[2:3]
	s_cbranch_vccnz .LBB31_25
.LBB31_9:                               ; =>This Inner Loop Header: Depth=1
	v_mov_b32_e32 v25, s17
	v_add_co_u32_e32 v24, vcc, s16, v0
	v_addc_co_u32_e32 v25, vcc, 0, v25, vcc
	v_cmp_gt_u64_e32 vcc, s[14:15], v[24:25]
	v_mov_b32_e32 v25, 0
	v_mov_b32_e32 v24, 0
	s_and_saveexec_b64 s[4:5], vcc
	s_cbranch_execz .LBB31_11
; %bb.10:                               ;   in Loop: Header=BB31_9 Depth=1
	v_mov_b32_e32 v24, s11
	v_add_co_u32_e64 v26, s[2:3], s10, v3
	v_addc_co_u32_e64 v27, s[2:3], v4, v24, s[2:3]
	v_add_co_u32_e64 v28, s[2:3], s10, v1
	v_addc_co_u32_e64 v29, s[2:3], v2, v24, s[2:3]
	global_load_dword v24, v[28:29], off
	global_load_dword v25, v[26:27], off
.LBB31_11:                              ;   in Loop: Header=BB31_9 Depth=1
	s_or_b64 exec, exec, s[4:5]
	v_mov_b32_e32 v27, s17
	v_add_co_u32_e64 v26, s[2:3], s16, v13
	v_addc_co_u32_e64 v27, s[2:3], v14, v27, s[2:3]
	v_cmp_gt_u64_e64 s[2:3], s[14:15], v[26:27]
	v_mov_b32_e32 v26, 0
	v_mov_b32_e32 v28, 0
	;; [unrolled: 1-line block ×3, first 2 shown]
	s_and_saveexec_b64 s[6:7], s[2:3]
	s_cbranch_execz .LBB31_13
; %bb.12:                               ;   in Loop: Header=BB31_9 Depth=1
	v_mov_b32_e32 v27, s11
	v_add_co_u32_e64 v29, s[4:5], s10, v17
	v_addc_co_u32_e64 v30, s[4:5], v18, v27, s[4:5]
	v_add_co_u32_e64 v31, s[4:5], s10, v15
	v_addc_co_u32_e64 v32, s[4:5], v16, v27, s[4:5]
	global_load_dword v27, v[31:32], off
	global_load_dword v28, v[29:30], off
.LBB31_13:                              ;   in Loop: Header=BB31_9 Depth=1
	s_or_b64 exec, exec, s[6:7]
	v_mov_b32_e32 v30, s17
	v_add_co_u32_e64 v29, s[4:5], s16, v22
	v_addc_co_u32_e64 v30, s[4:5], v23, v30, s[4:5]
	v_cmp_gt_u64_e64 s[4:5], s[14:15], v[29:30]
	v_mov_b32_e32 v29, 0
	s_and_saveexec_b64 s[8:9], s[4:5]
	s_cbranch_execz .LBB31_15
; %bb.14:                               ;   in Loop: Header=BB31_9 Depth=1
	v_mov_b32_e32 v26, s11
	v_add_co_u32_e64 v30, s[6:7], s10, v11
	v_addc_co_u32_e64 v31, s[6:7], v12, v26, s[6:7]
	v_add_co_u32_e64 v32, s[6:7], s10, v9
	v_addc_co_u32_e64 v33, s[6:7], v10, v26, s[6:7]
	global_load_dword v29, v[32:33], off
	global_load_dword v26, v[30:31], off
.LBB31_15:                              ;   in Loop: Header=BB31_9 Depth=1
	s_or_b64 exec, exec, s[8:9]
	v_mov_b32_e32 v31, s17
	v_add_co_u32_e64 v30, s[6:7], s16, v20
	v_addc_co_u32_e64 v31, s[6:7], v21, v31, s[6:7]
	v_cmp_gt_u64_e64 s[6:7], s[14:15], v[30:31]
	v_mov_b32_e32 v30, 0
	v_mov_b32_e32 v31, 0
	s_and_saveexec_b64 s[18:19], s[6:7]
	s_cbranch_execnz .LBB31_20
; %bb.16:                               ;   in Loop: Header=BB31_9 Depth=1
	s_or_b64 exec, exec, s[18:19]
	s_and_saveexec_b64 s[8:9], vcc
	s_cbranch_execnz .LBB31_21
.LBB31_17:                              ;   in Loop: Header=BB31_9 Depth=1
	s_or_b64 exec, exec, s[8:9]
	s_and_saveexec_b64 s[8:9], s[2:3]
	s_cbranch_execnz .LBB31_22
.LBB31_18:                              ;   in Loop: Header=BB31_9 Depth=1
	s_or_b64 exec, exec, s[8:9]
	s_and_saveexec_b64 s[2:3], s[4:5]
	s_cbranch_execnz .LBB31_23
.LBB31_19:                              ;   in Loop: Header=BB31_9 Depth=1
	s_or_b64 exec, exec, s[2:3]
	s_and_saveexec_b64 s[2:3], s[6:7]
	s_cbranch_execz .LBB31_8
	s_branch .LBB31_24
.LBB31_20:                              ;   in Loop: Header=BB31_9 Depth=1
	v_mov_b32_e32 v30, s11
	v_add_co_u32_e64 v32, s[8:9], s10, v7
	v_addc_co_u32_e64 v33, s[8:9], v8, v30, s[8:9]
	v_add_co_u32_e64 v34, s[8:9], s10, v5
	v_addc_co_u32_e64 v35, s[8:9], v6, v30, s[8:9]
	global_load_dword v31, v[34:35], off
	global_load_dword v30, v[32:33], off
	s_or_b64 exec, exec, s[18:19]
	s_and_saveexec_b64 s[8:9], vcc
	s_cbranch_execz .LBB31_17
.LBB31_21:                              ;   in Loop: Header=BB31_9 Depth=1
	s_waitcnt vmcnt(0)
	v_sub_f32_e32 v34, v25, v24
	v_mov_b32_e32 v33, s11
	v_add_co_u32_e32 v32, vcc, s10, v1
	v_fmac_f32_e32 v24, s20, v34
	v_fma_f32 v25, -v19, v34, v25
	v_addc_co_u32_e32 v33, vcc, v2, v33, vcc
	v_cndmask_b32_e64 v24, v25, v24, s[0:1]
	global_store_dword v[32:33], v24, off
	s_or_b64 exec, exec, s[8:9]
	s_and_saveexec_b64 s[8:9], s[2:3]
	s_cbranch_execz .LBB31_18
.LBB31_22:                              ;   in Loop: Header=BB31_9 Depth=1
	s_waitcnt vmcnt(0)
	v_sub_f32_e32 v24, v28, v27
	v_fmac_f32_e32 v27, s20, v24
	v_fma_f32 v24, -v19, v24, v28
	v_cndmask_b32_e64 v27, v24, v27, s[0:1]
	v_mov_b32_e32 v25, s11
	v_add_co_u32_e32 v24, vcc, s10, v15
	v_addc_co_u32_e32 v25, vcc, v16, v25, vcc
	global_store_dword v[24:25], v27, off
	s_or_b64 exec, exec, s[8:9]
	s_and_saveexec_b64 s[2:3], s[4:5]
	s_cbranch_execz .LBB31_19
.LBB31_23:                              ;   in Loop: Header=BB31_9 Depth=1
	s_waitcnt vmcnt(0)
	v_sub_f32_e32 v24, v26, v29
	v_fmac_f32_e32 v29, s20, v24
	v_fma_f32 v24, -v19, v24, v26
	v_cndmask_b32_e64 v26, v24, v29, s[0:1]
	v_mov_b32_e32 v25, s11
	v_add_co_u32_e32 v24, vcc, s10, v9
	v_addc_co_u32_e32 v25, vcc, v10, v25, vcc
	global_store_dword v[24:25], v26, off
	s_or_b64 exec, exec, s[2:3]
	s_and_saveexec_b64 s[2:3], s[6:7]
	s_cbranch_execz .LBB31_8
.LBB31_24:                              ;   in Loop: Header=BB31_9 Depth=1
	s_waitcnt vmcnt(0)
	v_sub_f32_e32 v24, v30, v31
	v_fmac_f32_e32 v31, s20, v24
	v_fma_f32 v24, -v19, v24, v30
	v_cndmask_b32_e64 v26, v24, v31, s[0:1]
	v_mov_b32_e32 v25, s11
	v_add_co_u32_e32 v24, vcc, s10, v5
	v_addc_co_u32_e32 v25, vcc, v6, v25, vcc
	global_store_dword v[24:25], v26, off
	s_branch .LBB31_8
.LBB31_25:
	s_endpgm
	.section	.rodata,"a",@progbits
	.p2align	6, 0x0
	.amdhsa_kernel _ZN2at6native12_GLOBAL__N_125multi_tensor_apply_kernelINS1_28TensorListScalarListMetadataIfLi2EEENS1_26TernaryOpScalarListFunctorIfLi2ELi2ELi0EEEJNS0_11LerpFunctorIfEEEEEvT_T0_DpT1_
		.amdhsa_group_segment_fixed_size 0
		.amdhsa_private_segment_fixed_size 0
		.amdhsa_kernarg_size 3656
		.amdhsa_user_sgpr_count 6
		.amdhsa_user_sgpr_private_segment_buffer 1
		.amdhsa_user_sgpr_dispatch_ptr 0
		.amdhsa_user_sgpr_queue_ptr 0
		.amdhsa_user_sgpr_kernarg_segment_ptr 1
		.amdhsa_user_sgpr_dispatch_id 0
		.amdhsa_user_sgpr_flat_scratch_init 0
		.amdhsa_user_sgpr_private_segment_size 0
		.amdhsa_uses_dynamic_stack 0
		.amdhsa_system_sgpr_private_segment_wavefront_offset 0
		.amdhsa_system_sgpr_workgroup_id_x 1
		.amdhsa_system_sgpr_workgroup_id_y 0
		.amdhsa_system_sgpr_workgroup_id_z 0
		.amdhsa_system_sgpr_workgroup_info 0
		.amdhsa_system_vgpr_workitem_id 0
		.amdhsa_next_free_vgpr 36
		.amdhsa_next_free_sgpr 23
		.amdhsa_reserve_vcc 1
		.amdhsa_reserve_flat_scratch 0
		.amdhsa_float_round_mode_32 0
		.amdhsa_float_round_mode_16_64 0
		.amdhsa_float_denorm_mode_32 3
		.amdhsa_float_denorm_mode_16_64 3
		.amdhsa_dx10_clamp 1
		.amdhsa_ieee_mode 1
		.amdhsa_fp16_overflow 0
		.amdhsa_exception_fp_ieee_invalid_op 0
		.amdhsa_exception_fp_denorm_src 0
		.amdhsa_exception_fp_ieee_div_zero 0
		.amdhsa_exception_fp_ieee_overflow 0
		.amdhsa_exception_fp_ieee_underflow 0
		.amdhsa_exception_fp_ieee_inexact 0
		.amdhsa_exception_int_div_zero 0
	.end_amdhsa_kernel
	.section	.text._ZN2at6native12_GLOBAL__N_125multi_tensor_apply_kernelINS1_28TensorListScalarListMetadataIfLi2EEENS1_26TernaryOpScalarListFunctorIfLi2ELi2ELi0EEEJNS0_11LerpFunctorIfEEEEEvT_T0_DpT1_,"axG",@progbits,_ZN2at6native12_GLOBAL__N_125multi_tensor_apply_kernelINS1_28TensorListScalarListMetadataIfLi2EEENS1_26TernaryOpScalarListFunctorIfLi2ELi2ELi0EEEJNS0_11LerpFunctorIfEEEEEvT_T0_DpT1_,comdat
.Lfunc_end31:
	.size	_ZN2at6native12_GLOBAL__N_125multi_tensor_apply_kernelINS1_28TensorListScalarListMetadataIfLi2EEENS1_26TernaryOpScalarListFunctorIfLi2ELi2ELi0EEEJNS0_11LerpFunctorIfEEEEEvT_T0_DpT1_, .Lfunc_end31-_ZN2at6native12_GLOBAL__N_125multi_tensor_apply_kernelINS1_28TensorListScalarListMetadataIfLi2EEENS1_26TernaryOpScalarListFunctorIfLi2ELi2ELi0EEEJNS0_11LerpFunctorIfEEEEEvT_T0_DpT1_
                                        ; -- End function
	.set _ZN2at6native12_GLOBAL__N_125multi_tensor_apply_kernelINS1_28TensorListScalarListMetadataIfLi2EEENS1_26TernaryOpScalarListFunctorIfLi2ELi2ELi0EEEJNS0_11LerpFunctorIfEEEEEvT_T0_DpT1_.num_vgpr, 36
	.set _ZN2at6native12_GLOBAL__N_125multi_tensor_apply_kernelINS1_28TensorListScalarListMetadataIfLi2EEENS1_26TernaryOpScalarListFunctorIfLi2ELi2ELi0EEEJNS0_11LerpFunctorIfEEEEEvT_T0_DpT1_.num_agpr, 0
	.set _ZN2at6native12_GLOBAL__N_125multi_tensor_apply_kernelINS1_28TensorListScalarListMetadataIfLi2EEENS1_26TernaryOpScalarListFunctorIfLi2ELi2ELi0EEEJNS0_11LerpFunctorIfEEEEEvT_T0_DpT1_.numbered_sgpr, 23
	.set _ZN2at6native12_GLOBAL__N_125multi_tensor_apply_kernelINS1_28TensorListScalarListMetadataIfLi2EEENS1_26TernaryOpScalarListFunctorIfLi2ELi2ELi0EEEJNS0_11LerpFunctorIfEEEEEvT_T0_DpT1_.num_named_barrier, 0
	.set _ZN2at6native12_GLOBAL__N_125multi_tensor_apply_kernelINS1_28TensorListScalarListMetadataIfLi2EEENS1_26TernaryOpScalarListFunctorIfLi2ELi2ELi0EEEJNS0_11LerpFunctorIfEEEEEvT_T0_DpT1_.private_seg_size, 0
	.set _ZN2at6native12_GLOBAL__N_125multi_tensor_apply_kernelINS1_28TensorListScalarListMetadataIfLi2EEENS1_26TernaryOpScalarListFunctorIfLi2ELi2ELi0EEEJNS0_11LerpFunctorIfEEEEEvT_T0_DpT1_.uses_vcc, 1
	.set _ZN2at6native12_GLOBAL__N_125multi_tensor_apply_kernelINS1_28TensorListScalarListMetadataIfLi2EEENS1_26TernaryOpScalarListFunctorIfLi2ELi2ELi0EEEJNS0_11LerpFunctorIfEEEEEvT_T0_DpT1_.uses_flat_scratch, 0
	.set _ZN2at6native12_GLOBAL__N_125multi_tensor_apply_kernelINS1_28TensorListScalarListMetadataIfLi2EEENS1_26TernaryOpScalarListFunctorIfLi2ELi2ELi0EEEJNS0_11LerpFunctorIfEEEEEvT_T0_DpT1_.has_dyn_sized_stack, 0
	.set _ZN2at6native12_GLOBAL__N_125multi_tensor_apply_kernelINS1_28TensorListScalarListMetadataIfLi2EEENS1_26TernaryOpScalarListFunctorIfLi2ELi2ELi0EEEJNS0_11LerpFunctorIfEEEEEvT_T0_DpT1_.has_recursion, 0
	.set _ZN2at6native12_GLOBAL__N_125multi_tensor_apply_kernelINS1_28TensorListScalarListMetadataIfLi2EEENS1_26TernaryOpScalarListFunctorIfLi2ELi2ELi0EEEJNS0_11LerpFunctorIfEEEEEvT_T0_DpT1_.has_indirect_call, 0
	.section	.AMDGPU.csdata,"",@progbits
; Kernel info:
; codeLenInByte = 1660
; TotalNumSgprs: 27
; NumVgprs: 36
; ScratchSize: 0
; MemoryBound: 0
; FloatMode: 240
; IeeeMode: 1
; LDSByteSize: 0 bytes/workgroup (compile time only)
; SGPRBlocks: 3
; VGPRBlocks: 8
; NumSGPRsForWavesPerEU: 27
; NumVGPRsForWavesPerEU: 36
; Occupancy: 7
; WaveLimiterHint : 0
; COMPUTE_PGM_RSRC2:SCRATCH_EN: 0
; COMPUTE_PGM_RSRC2:USER_SGPR: 6
; COMPUTE_PGM_RSRC2:TRAP_HANDLER: 0
; COMPUTE_PGM_RSRC2:TGID_X_EN: 1
; COMPUTE_PGM_RSRC2:TGID_Y_EN: 0
; COMPUTE_PGM_RSRC2:TGID_Z_EN: 0
; COMPUTE_PGM_RSRC2:TIDIG_COMP_CNT: 0
	.section	.text._ZN2at6native12_GLOBAL__N_125multi_tensor_apply_kernelINS1_28TensorListScalarListMetadataIN3c107complexIdEELi2EEENS1_26TernaryOpScalarListFunctorIS6_Li2ELi2ELi0EEEJNS0_11LerpFunctorIS6_EEEEEvT_T0_DpT1_,"axG",@progbits,_ZN2at6native12_GLOBAL__N_125multi_tensor_apply_kernelINS1_28TensorListScalarListMetadataIN3c107complexIdEELi2EEENS1_26TernaryOpScalarListFunctorIS6_Li2ELi2ELi0EEEJNS0_11LerpFunctorIS6_EEEEEvT_T0_DpT1_,comdat
	.globl	_ZN2at6native12_GLOBAL__N_125multi_tensor_apply_kernelINS1_28TensorListScalarListMetadataIN3c107complexIdEELi2EEENS1_26TernaryOpScalarListFunctorIS6_Li2ELi2ELi0EEEJNS0_11LerpFunctorIS6_EEEEEvT_T0_DpT1_ ; -- Begin function _ZN2at6native12_GLOBAL__N_125multi_tensor_apply_kernelINS1_28TensorListScalarListMetadataIN3c107complexIdEELi2EEENS1_26TernaryOpScalarListFunctorIS6_Li2ELi2ELi0EEEJNS0_11LerpFunctorIS6_EEEEEvT_T0_DpT1_
	.p2align	8
	.type	_ZN2at6native12_GLOBAL__N_125multi_tensor_apply_kernelINS1_28TensorListScalarListMetadataIN3c107complexIdEELi2EEENS1_26TernaryOpScalarListFunctorIS6_Li2ELi2ELi0EEEJNS0_11LerpFunctorIS6_EEEEEvT_T0_DpT1_,@function
_ZN2at6native12_GLOBAL__N_125multi_tensor_apply_kernelINS1_28TensorListScalarListMetadataIN3c107complexIdEELi2EEENS1_26TernaryOpScalarListFunctorIS6_Li2ELi2ELi0EEEJNS0_11LerpFunctorIS6_EEEEEvT_T0_DpT1_: ; @_ZN2at6native12_GLOBAL__N_125multi_tensor_apply_kernelINS1_28TensorListScalarListMetadataIN3c107complexIdEELi2EEENS1_26TernaryOpScalarListFunctorIS6_Li2ELi2ELi0EEEJNS0_11LerpFunctorIS6_EEEEEvT_T0_DpT1_
; %bb.0:
	v_mov_b32_e32 v1, s6
	global_load_ubyte v1, v1, s[4:5] offset:2400
	s_add_u32 s0, s4, s6
	s_mul_hi_u32 s3, s6, 3
	s_mul_i32 s6, s6, 3
	s_addc_u32 s7, s5, 0
	s_add_u32 s2, s0, s6
	s_addc_u32 s3, s7, s3
	s_load_dword s2, s[2:3], 0xaa0
	s_mov_b32 s1, 0
	s_mov_b32 s9, s1
	s_waitcnt lgkmcnt(0)
	s_ashr_i32 s3, s2, 31
	s_waitcnt vmcnt(0)
	v_readfirstlane_b32 s0, v1
	s_lshl_b32 s0, s0, 3
	s_load_dwordx2 s[10:11], s[4:5], s0 offset:0x3c0
	s_load_dwordx2 s[6:7], s[4:5], s0 offset:0x0
	;; [unrolled: 1-line block ×3, first 2 shown]
	s_add_u32 s12, s4, s0
	s_addc_u32 s13, s5, 0
	s_lshl_b64 s[20:21], s[2:3], 20
	s_waitcnt lgkmcnt(0)
	s_add_u32 s16, s6, s20
	s_load_dwordx4 s[12:15], s[12:13], s0 offset:0x5a0
	s_addc_u32 s17, s7, s21
	s_and_b32 s0, s16, 63
	s_add_u32 s18, s18, s20
	s_addc_u32 s19, s19, s21
	s_lshl_b64 s[2:3], s[2:3], 16
	s_and_b32 s8, s18, 63
	s_sub_u32 s6, s10, s2
	s_subb_u32 s7, s11, s3
	s_and_b32 s2, s10, 3
	s_mov_b32 s3, s1
	s_or_b64 s[2:3], s[8:9], s[2:3]
	s_or_b64 s[0:1], s[2:3], s[0:1]
	s_cmp_eq_u64 s[0:1], 0
	s_mov_b64 s[0:1], -1
	s_cbranch_scc0 .LBB32_21
; %bb.1:
	v_mov_b32_e32 v1, 0x10000
	v_mov_b32_e32 v2, 0
	v_cmp_lt_i64_e32 vcc, s[6:7], v[1:2]
	v_mov_b32_e32 v2, 0
	s_and_b64 s[0:1], vcc, exec
	s_cselect_b32 s9, s7, 0
	s_cselect_b32 s8, s6, 0x10000
	v_lshlrev_b32_e32 v1, 2, v0
	v_cmp_gt_i64_e32 vcc, s[8:9], v[1:2]
	s_and_saveexec_b64 s[10:11], vcc
	s_cbranch_execz .LBB32_20
; %bb.2:
	s_waitcnt lgkmcnt(0)
	v_mul_f64 v[3:4], s[14:15], s[14:15]
	s_mov_b32 s0, 0
	s_mov_b32 s1, 0x3fd00000
	v_add_f64 v[37:38], -s[12:13], 1.0
	v_add_f64 v[39:40], -s[14:15], 0
	s_load_dword s2, s[4:5], 0xfb4
	v_mov_b32_e32 v1, v2
	v_mov_b32_e32 v42, v1
	v_fma_f64 v[3:4], s[12:13], s[12:13], v[3:4]
	s_mov_b64 s[20:21], 0
	s_waitcnt lgkmcnt(0)
	s_and_b32 s28, s2, 0xffff
	v_lshlrev_b32_e32 v49, 6, v0
	s_lshl_b32 s29, s28, 6
	s_mov_b64 s[22:23], s[16:17]
	s_mov_b64 s[24:25], s[18:19]
	v_mov_b32_e32 v41, v0
	v_cmp_ngt_f64_e64 s[0:1], s[0:1], v[3:4]
	s_branch .LBB32_4
.LBB32_3:                               ;   in Loop: Header=BB32_4 Depth=1
	v_add_co_u32_e32 v41, vcc, s28, v41
	v_addc_co_u32_e32 v42, vcc, 0, v42, vcc
	v_lshlrev_b64 v[1:2], 2, v[41:42]
	s_add_u32 s24, s24, s29
	s_addc_u32 s25, s25, 0
	s_add_u32 s22, s22, s29
	v_cmp_le_i64_e32 vcc, s[8:9], v[1:2]
	s_addc_u32 s23, s23, 0
	s_or_b64 s[20:21], vcc, s[20:21]
	global_store_dwordx4 v[43:44], v[5:8], off
	global_store_dwordx4 v[43:44], v[17:20], off offset:16
	global_store_dwordx4 v[43:44], v[25:28], off offset:32
	;; [unrolled: 1-line block ×3, first 2 shown]
	s_andn2_b64 exec, exec, s[20:21]
	s_cbranch_execz .LBB32_20
.LBB32_4:                               ; =>This Inner Loop Header: Depth=1
	v_mov_b32_e32 v1, s23
	v_add_co_u32_e32 v43, vcc, s22, v49
	v_addc_co_u32_e32 v44, vcc, 0, v1, vcc
	v_mov_b32_e32 v1, s25
	v_add_co_u32_e32 v5, vcc, s24, v49
	v_addc_co_u32_e32 v6, vcc, 0, v1, vcc
	global_load_dwordx4 v[17:20], v[43:44], off
	global_load_dwordx4 v[33:36], v[5:6], off
	global_load_dwordx4 v[29:32], v[5:6], off offset:16
	global_load_dwordx4 v[9:12], v[5:6], off offset:48
	;; [unrolled: 1-line block ×6, first 2 shown]
	s_mov_b64 s[2:3], -1
	s_and_b64 vcc, exec, s[0:1]
                                        ; implicit-def: $vgpr7_vgpr8
	s_waitcnt vmcnt(6)
	v_add_f64 v[45:46], v[33:34], -v[17:18]
	v_add_f64 v[47:48], v[35:36], -v[19:20]
	s_cbranch_vccz .LBB32_6
; %bb.5:                                ;   in Loop: Header=BB32_4 Depth=1
	v_mul_f64 v[5:6], v[39:40], v[47:48]
	v_mul_f64 v[7:8], v[37:38], v[47:48]
	s_mov_b64 s[2:3], 0
	v_fma_f64 v[5:6], v[37:38], v[45:46], -v[5:6]
	v_fma_f64 v[7:8], v[39:40], v[45:46], v[7:8]
	v_add_f64 v[5:6], v[33:34], -v[5:6]
	v_add_f64 v[7:8], v[35:36], -v[7:8]
.LBB32_6:                               ;   in Loop: Header=BB32_4 Depth=1
	s_andn2_b64 vcc, exec, s[2:3]
	s_cbranch_vccnz .LBB32_8
; %bb.7:                                ;   in Loop: Header=BB32_4 Depth=1
	v_mul_f64 v[5:6], s[14:15], v[47:48]
	v_mul_f64 v[7:8], s[12:13], v[47:48]
	v_fma_f64 v[5:6], s[12:13], v[45:46], -v[5:6]
	v_fma_f64 v[7:8], s[14:15], v[45:46], v[7:8]
	v_add_f64 v[5:6], v[17:18], v[5:6]
	v_add_f64 v[7:8], v[19:20], v[7:8]
.LBB32_8:                               ;   in Loop: Header=BB32_4 Depth=1
	s_waitcnt vmcnt(2)
	v_add_f64 v[33:34], v[29:30], -v[25:26]
	v_add_f64 v[35:36], v[31:32], -v[27:28]
	v_cndmask_b32_e64 v17, 0, 1, s[0:1]
	v_cmp_ne_u32_e64 s[2:3], 1, v17
	s_andn2_b64 vcc, exec, s[0:1]
	s_mov_b64 s[26:27], -1
                                        ; implicit-def: $vgpr19_vgpr20
	s_cbranch_vccnz .LBB32_10
; %bb.9:                                ;   in Loop: Header=BB32_4 Depth=1
	v_mul_f64 v[17:18], v[39:40], v[35:36]
	v_mul_f64 v[19:20], v[37:38], v[35:36]
	s_mov_b64 s[26:27], 0
	v_fma_f64 v[17:18], v[37:38], v[33:34], -v[17:18]
	v_fma_f64 v[19:20], v[39:40], v[33:34], v[19:20]
	v_add_f64 v[17:18], v[29:30], -v[17:18]
	v_add_f64 v[19:20], v[31:32], -v[19:20]
.LBB32_10:                              ;   in Loop: Header=BB32_4 Depth=1
	s_andn2_b64 vcc, exec, s[26:27]
	s_cbranch_vccnz .LBB32_12
; %bb.11:                               ;   in Loop: Header=BB32_4 Depth=1
	v_mul_f64 v[17:18], s[14:15], v[35:36]
	v_mul_f64 v[19:20], s[12:13], v[35:36]
	v_fma_f64 v[17:18], s[12:13], v[33:34], -v[17:18]
	v_fma_f64 v[19:20], s[14:15], v[33:34], v[19:20]
	v_add_f64 v[17:18], v[25:26], v[17:18]
	v_add_f64 v[19:20], v[27:28], v[19:20]
.LBB32_12:                              ;   in Loop: Header=BB32_4 Depth=1
	s_waitcnt vmcnt(0)
	v_add_f64 v[29:30], v[21:22], -v[13:14]
	v_add_f64 v[31:32], v[23:24], -v[15:16]
	s_and_b64 vcc, exec, s[2:3]
	s_mov_b64 s[26:27], -1
                                        ; implicit-def: $vgpr27_vgpr28
	s_cbranch_vccnz .LBB32_14
; %bb.13:                               ;   in Loop: Header=BB32_4 Depth=1
	v_mul_f64 v[25:26], v[39:40], v[31:32]
	v_mul_f64 v[27:28], v[37:38], v[31:32]
	s_mov_b64 s[26:27], 0
	v_fma_f64 v[25:26], v[37:38], v[29:30], -v[25:26]
	v_fma_f64 v[27:28], v[39:40], v[29:30], v[27:28]
	v_add_f64 v[25:26], v[21:22], -v[25:26]
	v_add_f64 v[27:28], v[23:24], -v[27:28]
.LBB32_14:                              ;   in Loop: Header=BB32_4 Depth=1
	s_andn2_b64 vcc, exec, s[26:27]
	s_cbranch_vccnz .LBB32_16
; %bb.15:                               ;   in Loop: Header=BB32_4 Depth=1
	v_mul_f64 v[21:22], s[14:15], v[31:32]
	v_mul_f64 v[23:24], s[12:13], v[31:32]
	v_fma_f64 v[21:22], s[12:13], v[29:30], -v[21:22]
	v_fma_f64 v[23:24], s[14:15], v[29:30], v[23:24]
	v_add_f64 v[25:26], v[13:14], v[21:22]
	v_add_f64 v[27:28], v[15:16], v[23:24]
.LBB32_16:                              ;   in Loop: Header=BB32_4 Depth=1
	v_add_f64 v[21:22], v[9:10], -v[1:2]
	v_add_f64 v[23:24], v[11:12], -v[3:4]
	s_and_b64 vcc, exec, s[2:3]
	s_mov_b64 s[2:3], -1
                                        ; implicit-def: $vgpr15_vgpr16
	s_cbranch_vccnz .LBB32_18
; %bb.17:                               ;   in Loop: Header=BB32_4 Depth=1
	v_mul_f64 v[13:14], v[39:40], v[23:24]
	v_mul_f64 v[15:16], v[37:38], v[23:24]
	s_mov_b64 s[2:3], 0
	v_fma_f64 v[13:14], v[37:38], v[21:22], -v[13:14]
	v_fma_f64 v[15:16], v[39:40], v[21:22], v[15:16]
	v_add_f64 v[13:14], v[9:10], -v[13:14]
	v_add_f64 v[15:16], v[11:12], -v[15:16]
.LBB32_18:                              ;   in Loop: Header=BB32_4 Depth=1
	s_andn2_b64 vcc, exec, s[2:3]
	s_cbranch_vccnz .LBB32_3
; %bb.19:                               ;   in Loop: Header=BB32_4 Depth=1
	v_mul_f64 v[9:10], s[14:15], v[23:24]
	v_mul_f64 v[11:12], s[12:13], v[23:24]
	v_fma_f64 v[9:10], s[12:13], v[21:22], -v[9:10]
	v_fma_f64 v[11:12], s[14:15], v[21:22], v[11:12]
	v_add_f64 v[13:14], v[1:2], v[9:10]
	v_add_f64 v[15:16], v[3:4], v[11:12]
	s_branch .LBB32_3
.LBB32_20:
	s_or_b64 exec, exec, s[10:11]
	s_mov_b64 s[0:1], 0
.LBB32_21:
	s_andn2_b64 vcc, exec, s[0:1]
	s_cbranch_vccnz .LBB32_57
; %bb.22:
	v_cmp_lt_i64_e64 s[0:1], s[6:7], 1
	s_and_b64 vcc, exec, s[0:1]
	s_cbranch_vccnz .LBB32_57
; %bb.23:
	s_waitcnt lgkmcnt(0)
	v_mul_f64 v[1:2], s[14:15], s[14:15]
	s_mov_b32 s0, 0
	s_mov_b32 s1, 0x3fd00000
	v_mov_b32_e32 v3, 0x10000
	s_load_dword s8, s[4:5], 0xfb4
	v_add_f64 v[37:38], -s[12:13], 1.0
	v_add_f64 v[39:40], -s[14:15], 0
	v_mov_b32_e32 v4, 0
	v_fma_f64 v[1:2], s[12:13], s[12:13], v[1:2]
	v_cmp_lt_i64_e32 vcc, s[6:7], v[3:4]
	v_cmp_lt_u64_e64 s[2:3], s[6:7], v[3:4]
	s_and_b64 s[4:5], vcc, exec
	s_cselect_b32 s21, s7, 0
	s_cselect_b32 s20, s6, 0x10000
	s_waitcnt lgkmcnt(0)
	s_and_b32 s28, s8, 0xffff
	s_and_b64 s[2:3], s[2:3], exec
	v_cmp_ngt_f64_e64 s[0:1], s[0:1], v[1:2]
	s_cselect_b32 s23, s7, 0
	s_cselect_b32 s22, s6, 0x10000
	s_lshl_b32 s29, s28, 1
	s_mul_i32 s30, s28, 3
	s_mov_b64 s[24:25], 0
	s_lshl_b32 s31, s28, 2
	s_branch .LBB32_25
.LBB32_24:                              ;   in Loop: Header=BB32_25 Depth=1
	s_or_b64 exec, exec, s[2:3]
	s_add_u32 s24, s24, s31
	v_mov_b32_e32 v1, s20
	s_addc_u32 s25, s25, 0
	v_mov_b32_e32 v2, s21
	v_cmp_ge_i64_e32 vcc, s[24:25], v[1:2]
	s_cbranch_vccnz .LBB32_57
.LBB32_25:                              ; =>This Inner Loop Header: Depth=1
	v_mov_b32_e32 v1, s25
	v_add_co_u32_e32 v41, vcc, s24, v0
	v_addc_co_u32_e32 v42, vcc, 0, v1, vcc
	v_cmp_gt_u64_e64 s[2:3], s[22:23], v[41:42]
	v_mov_b32_e32 v3, 0
	v_mov_b32_e32 v27, 0
	;; [unrolled: 1-line block ×10, first 2 shown]
	s_and_saveexec_b64 s[4:5], s[2:3]
	s_cbranch_execz .LBB32_27
; %bb.26:                               ;   in Loop: Header=BB32_25 Depth=1
	v_lshlrev_b64 v[1:2], 4, v[41:42]
	v_mov_b32_e32 v6, s19
	v_add_co_u32_e32 v5, vcc, s18, v1
	v_addc_co_u32_e32 v6, vcc, v6, v2, vcc
	v_mov_b32_e32 v7, s17
	v_add_co_u32_e32 v1, vcc, s16, v1
	v_addc_co_u32_e32 v2, vcc, v7, v2, vcc
	global_load_dwordx4 v[9:12], v[1:2], off
	global_load_dwordx4 v[25:28], v[5:6], off
.LBB32_27:                              ;   in Loop: Header=BB32_25 Depth=1
	s_or_b64 exec, exec, s[4:5]
	v_add_co_u32_e32 v43, vcc, s28, v41
	v_addc_co_u32_e32 v44, vcc, 0, v42, vcc
	v_cmp_gt_u64_e64 s[4:5], s[22:23], v[43:44]
	v_mov_b32_e32 v1, 0
	v_mov_b32_e32 v15, 0
	;; [unrolled: 1-line block ×6, first 2 shown]
	s_and_saveexec_b64 s[6:7], s[4:5]
	s_cbranch_execz .LBB32_29
; %bb.28:                               ;   in Loop: Header=BB32_25 Depth=1
	v_lshlrev_b64 v[1:2], 4, v[43:44]
	v_mov_b32_e32 v3, s19
	v_add_co_u32_e32 v5, vcc, s18, v1
	v_addc_co_u32_e32 v6, vcc, v3, v2, vcc
	v_mov_b32_e32 v3, s17
	v_add_co_u32_e32 v7, vcc, s16, v1
	v_addc_co_u32_e32 v8, vcc, v3, v2, vcc
	global_load_dwordx4 v[13:16], v[7:8], off
	global_load_dwordx4 v[1:4], v[5:6], off
.LBB32_29:                              ;   in Loop: Header=BB32_25 Depth=1
	s_or_b64 exec, exec, s[6:7]
	v_add_co_u32_e32 v45, vcc, s29, v41
	v_addc_co_u32_e32 v46, vcc, 0, v42, vcc
	v_cmp_gt_u64_e64 s[6:7], s[22:23], v[45:46]
	v_mov_b32_e32 v7, 0
	v_mov_b32_e32 v31, 0
	;; [unrolled: 1-line block ×10, first 2 shown]
	s_and_saveexec_b64 s[8:9], s[6:7]
	s_cbranch_execz .LBB32_31
; %bb.30:                               ;   in Loop: Header=BB32_25 Depth=1
	v_lshlrev_b64 v[5:6], 4, v[45:46]
	v_mov_b32_e32 v17, s19
	v_add_co_u32_e32 v21, vcc, s18, v5
	v_addc_co_u32_e32 v22, vcc, v17, v6, vcc
	v_mov_b32_e32 v17, s17
	v_add_co_u32_e32 v5, vcc, s16, v5
	v_addc_co_u32_e32 v6, vcc, v17, v6, vcc
	global_load_dwordx4 v[17:20], v[5:6], off
	global_load_dwordx4 v[29:32], v[21:22], off
.LBB32_31:                              ;   in Loop: Header=BB32_25 Depth=1
	s_or_b64 exec, exec, s[8:9]
	v_add_co_u32_e32 v47, vcc, s30, v41
	v_addc_co_u32_e32 v48, vcc, 0, v42, vcc
	v_cmp_gt_u64_e64 s[8:9], s[22:23], v[47:48]
	v_mov_b32_e32 v5, 0
	v_mov_b32_e32 v23, 0
	;; [unrolled: 1-line block ×6, first 2 shown]
	s_and_saveexec_b64 s[10:11], s[8:9]
	s_cbranch_execz .LBB32_33
; %bb.32:                               ;   in Loop: Header=BB32_25 Depth=1
	v_lshlrev_b64 v[5:6], 4, v[47:48]
	v_mov_b32_e32 v7, s19
	v_add_co_u32_e32 v33, vcc, s18, v5
	v_addc_co_u32_e32 v34, vcc, v7, v6, vcc
	v_mov_b32_e32 v7, s17
	v_add_co_u32_e32 v35, vcc, s16, v5
	v_addc_co_u32_e32 v36, vcc, v7, v6, vcc
	global_load_dwordx4 v[21:24], v[35:36], off
	global_load_dwordx4 v[5:8], v[33:34], off
.LBB32_33:                              ;   in Loop: Header=BB32_25 Depth=1
	s_or_b64 exec, exec, s[10:11]
	s_waitcnt vmcnt(0)
	v_add_f64 v[49:50], v[25:26], -v[9:10]
	v_add_f64 v[51:52], v[27:28], -v[11:12]
	s_mov_b64 s[10:11], -1
	s_and_b64 vcc, exec, s[0:1]
                                        ; implicit-def: $vgpr35_vgpr36
	s_cbranch_vccz .LBB32_35
; %bb.34:                               ;   in Loop: Header=BB32_25 Depth=1
	v_mul_f64 v[33:34], v[39:40], v[51:52]
	v_mul_f64 v[35:36], v[39:40], v[49:50]
	s_mov_b64 s[10:11], 0
	v_fma_f64 v[33:34], v[37:38], v[49:50], -v[33:34]
	v_fma_f64 v[35:36], v[37:38], v[51:52], v[35:36]
	v_add_f64 v[33:34], v[25:26], -v[33:34]
	v_add_f64 v[35:36], v[27:28], -v[35:36]
.LBB32_35:                              ;   in Loop: Header=BB32_25 Depth=1
	s_andn2_b64 vcc, exec, s[10:11]
	s_cbranch_vccnz .LBB32_37
; %bb.36:                               ;   in Loop: Header=BB32_25 Depth=1
	v_mul_f64 v[25:26], s[14:15], v[51:52]
	v_mul_f64 v[27:28], s[14:15], v[49:50]
	v_fma_f64 v[25:26], s[12:13], v[49:50], -v[25:26]
	v_fma_f64 v[27:28], s[12:13], v[51:52], v[27:28]
	v_add_f64 v[33:34], v[9:10], v[25:26]
	v_add_f64 v[35:36], v[11:12], v[27:28]
.LBB32_37:                              ;   in Loop: Header=BB32_25 Depth=1
	v_add_f64 v[25:26], v[1:2], -v[13:14]
	v_add_f64 v[27:28], v[3:4], -v[15:16]
	v_cndmask_b32_e64 v9, 0, 1, s[0:1]
	v_cmp_ne_u32_e64 s[10:11], 1, v9
	s_andn2_b64 vcc, exec, s[0:1]
	s_mov_b64 s[26:27], -1
                                        ; implicit-def: $vgpr11_vgpr12
	s_cbranch_vccnz .LBB32_39
; %bb.38:                               ;   in Loop: Header=BB32_25 Depth=1
	v_mul_f64 v[9:10], v[39:40], v[27:28]
	v_mul_f64 v[11:12], v[39:40], v[25:26]
	s_mov_b64 s[26:27], 0
	v_fma_f64 v[9:10], v[37:38], v[25:26], -v[9:10]
	v_fma_f64 v[11:12], v[37:38], v[27:28], v[11:12]
	v_add_f64 v[9:10], v[1:2], -v[9:10]
	v_add_f64 v[11:12], v[3:4], -v[11:12]
.LBB32_39:                              ;   in Loop: Header=BB32_25 Depth=1
	s_andn2_b64 vcc, exec, s[26:27]
	s_cbranch_vccnz .LBB32_41
; %bb.40:                               ;   in Loop: Header=BB32_25 Depth=1
	v_mul_f64 v[1:2], s[14:15], v[27:28]
	v_mul_f64 v[3:4], s[14:15], v[25:26]
	v_fma_f64 v[1:2], s[12:13], v[25:26], -v[1:2]
	v_fma_f64 v[3:4], s[12:13], v[27:28], v[3:4]
	v_add_f64 v[9:10], v[13:14], v[1:2]
	v_add_f64 v[11:12], v[15:16], v[3:4]
.LBB32_41:                              ;   in Loop: Header=BB32_25 Depth=1
	v_add_f64 v[13:14], v[29:30], -v[17:18]
	v_add_f64 v[15:16], v[31:32], -v[19:20]
	s_and_b64 vcc, exec, s[10:11]
	s_mov_b64 s[26:27], -1
                                        ; implicit-def: $vgpr3_vgpr4
	s_cbranch_vccnz .LBB32_43
; %bb.42:                               ;   in Loop: Header=BB32_25 Depth=1
	v_mul_f64 v[1:2], v[39:40], v[15:16]
	v_mul_f64 v[3:4], v[39:40], v[13:14]
	s_mov_b64 s[26:27], 0
	v_fma_f64 v[1:2], v[37:38], v[13:14], -v[1:2]
	v_fma_f64 v[3:4], v[37:38], v[15:16], v[3:4]
	v_add_f64 v[1:2], v[29:30], -v[1:2]
	v_add_f64 v[3:4], v[31:32], -v[3:4]
.LBB32_43:                              ;   in Loop: Header=BB32_25 Depth=1
	s_andn2_b64 vcc, exec, s[26:27]
	s_cbranch_vccnz .LBB32_45
; %bb.44:                               ;   in Loop: Header=BB32_25 Depth=1
	v_mul_f64 v[1:2], s[14:15], v[15:16]
	v_mul_f64 v[3:4], s[14:15], v[13:14]
	v_fma_f64 v[1:2], s[12:13], v[13:14], -v[1:2]
	v_fma_f64 v[3:4], s[12:13], v[15:16], v[3:4]
	v_add_f64 v[1:2], v[17:18], v[1:2]
	v_add_f64 v[3:4], v[19:20], v[3:4]
.LBB32_45:                              ;   in Loop: Header=BB32_25 Depth=1
	v_add_f64 v[17:18], v[5:6], -v[21:22]
	v_add_f64 v[19:20], v[7:8], -v[23:24]
	s_and_b64 vcc, exec, s[10:11]
	s_mov_b64 s[10:11], -1
                                        ; implicit-def: $vgpr15_vgpr16
	s_cbranch_vccz .LBB32_51
; %bb.46:                               ;   in Loop: Header=BB32_25 Depth=1
	s_andn2_b64 vcc, exec, s[10:11]
	s_cbranch_vccz .LBB32_52
.LBB32_47:                              ;   in Loop: Header=BB32_25 Depth=1
	s_and_saveexec_b64 s[10:11], s[2:3]
	s_xor_b64 s[2:3], exec, s[10:11]
	s_cbranch_execnz .LBB32_53
.LBB32_48:                              ;   in Loop: Header=BB32_25 Depth=1
	s_or_b64 exec, exec, s[2:3]
	s_and_saveexec_b64 s[2:3], s[4:5]
	s_cbranch_execnz .LBB32_54
.LBB32_49:                              ;   in Loop: Header=BB32_25 Depth=1
	s_or_b64 exec, exec, s[2:3]
	s_and_saveexec_b64 s[2:3], s[6:7]
	s_cbranch_execnz .LBB32_55
.LBB32_50:                              ;   in Loop: Header=BB32_25 Depth=1
	s_or_b64 exec, exec, s[2:3]
	s_and_saveexec_b64 s[2:3], s[8:9]
	s_cbranch_execz .LBB32_24
	s_branch .LBB32_56
.LBB32_51:                              ;   in Loop: Header=BB32_25 Depth=1
	v_mul_f64 v[13:14], v[39:40], v[19:20]
	v_mul_f64 v[15:16], v[39:40], v[17:18]
	v_fma_f64 v[13:14], v[37:38], v[17:18], -v[13:14]
	v_fma_f64 v[15:16], v[37:38], v[19:20], v[15:16]
	v_add_f64 v[13:14], v[5:6], -v[13:14]
	v_add_f64 v[15:16], v[7:8], -v[15:16]
	s_cbranch_execnz .LBB32_47
.LBB32_52:                              ;   in Loop: Header=BB32_25 Depth=1
	v_mul_f64 v[5:6], s[14:15], v[19:20]
	v_mul_f64 v[7:8], s[14:15], v[17:18]
	v_fma_f64 v[5:6], s[12:13], v[17:18], -v[5:6]
	v_fma_f64 v[7:8], s[12:13], v[19:20], v[7:8]
	v_add_f64 v[13:14], v[21:22], v[5:6]
	v_add_f64 v[15:16], v[23:24], v[7:8]
	s_and_saveexec_b64 s[10:11], s[2:3]
	s_xor_b64 s[2:3], exec, s[10:11]
	s_cbranch_execz .LBB32_48
.LBB32_53:                              ;   in Loop: Header=BB32_25 Depth=1
	v_lshlrev_b64 v[5:6], 4, v[41:42]
	v_mov_b32_e32 v7, s17
	v_add_co_u32_e32 v5, vcc, s16, v5
	v_addc_co_u32_e32 v6, vcc, v7, v6, vcc
	global_store_dwordx4 v[5:6], v[33:36], off
	s_or_b64 exec, exec, s[2:3]
	s_and_saveexec_b64 s[2:3], s[4:5]
	s_cbranch_execz .LBB32_49
.LBB32_54:                              ;   in Loop: Header=BB32_25 Depth=1
	v_lshlrev_b64 v[5:6], 4, v[43:44]
	v_mov_b32_e32 v7, s17
	v_add_co_u32_e32 v5, vcc, s16, v5
	v_addc_co_u32_e32 v6, vcc, v7, v6, vcc
	global_store_dwordx4 v[5:6], v[9:12], off
	s_or_b64 exec, exec, s[2:3]
	s_and_saveexec_b64 s[2:3], s[6:7]
	s_cbranch_execz .LBB32_50
.LBB32_55:                              ;   in Loop: Header=BB32_25 Depth=1
	v_lshlrev_b64 v[5:6], 4, v[45:46]
	v_mov_b32_e32 v7, s17
	v_add_co_u32_e32 v5, vcc, s16, v5
	v_addc_co_u32_e32 v6, vcc, v7, v6, vcc
	global_store_dwordx4 v[5:6], v[1:4], off
	s_or_b64 exec, exec, s[2:3]
	s_and_saveexec_b64 s[2:3], s[8:9]
	s_cbranch_execz .LBB32_24
.LBB32_56:                              ;   in Loop: Header=BB32_25 Depth=1
	v_lshlrev_b64 v[1:2], 4, v[47:48]
	v_mov_b32_e32 v3, s17
	v_add_co_u32_e32 v1, vcc, s16, v1
	v_addc_co_u32_e32 v2, vcc, v3, v2, vcc
	global_store_dwordx4 v[1:2], v[13:16], off
	s_branch .LBB32_24
.LBB32_57:
	s_endpgm
	.section	.rodata,"a",@progbits
	.p2align	6, 0x0
	.amdhsa_kernel _ZN2at6native12_GLOBAL__N_125multi_tensor_apply_kernelINS1_28TensorListScalarListMetadataIN3c107complexIdEELi2EEENS1_26TernaryOpScalarListFunctorIS6_Li2ELi2ELi0EEEJNS0_11LerpFunctorIS6_EEEEEvT_T0_DpT1_
		.amdhsa_group_segment_fixed_size 0
		.amdhsa_private_segment_fixed_size 0
		.amdhsa_kernarg_size 4264
		.amdhsa_user_sgpr_count 6
		.amdhsa_user_sgpr_private_segment_buffer 1
		.amdhsa_user_sgpr_dispatch_ptr 0
		.amdhsa_user_sgpr_queue_ptr 0
		.amdhsa_user_sgpr_kernarg_segment_ptr 1
		.amdhsa_user_sgpr_dispatch_id 0
		.amdhsa_user_sgpr_flat_scratch_init 0
		.amdhsa_user_sgpr_private_segment_size 0
		.amdhsa_uses_dynamic_stack 0
		.amdhsa_system_sgpr_private_segment_wavefront_offset 0
		.amdhsa_system_sgpr_workgroup_id_x 1
		.amdhsa_system_sgpr_workgroup_id_y 0
		.amdhsa_system_sgpr_workgroup_id_z 0
		.amdhsa_system_sgpr_workgroup_info 0
		.amdhsa_system_vgpr_workitem_id 0
		.amdhsa_next_free_vgpr 53
		.amdhsa_next_free_sgpr 32
		.amdhsa_reserve_vcc 1
		.amdhsa_reserve_flat_scratch 0
		.amdhsa_float_round_mode_32 0
		.amdhsa_float_round_mode_16_64 0
		.amdhsa_float_denorm_mode_32 3
		.amdhsa_float_denorm_mode_16_64 3
		.amdhsa_dx10_clamp 1
		.amdhsa_ieee_mode 1
		.amdhsa_fp16_overflow 0
		.amdhsa_exception_fp_ieee_invalid_op 0
		.amdhsa_exception_fp_denorm_src 0
		.amdhsa_exception_fp_ieee_div_zero 0
		.amdhsa_exception_fp_ieee_overflow 0
		.amdhsa_exception_fp_ieee_underflow 0
		.amdhsa_exception_fp_ieee_inexact 0
		.amdhsa_exception_int_div_zero 0
	.end_amdhsa_kernel
	.section	.text._ZN2at6native12_GLOBAL__N_125multi_tensor_apply_kernelINS1_28TensorListScalarListMetadataIN3c107complexIdEELi2EEENS1_26TernaryOpScalarListFunctorIS6_Li2ELi2ELi0EEEJNS0_11LerpFunctorIS6_EEEEEvT_T0_DpT1_,"axG",@progbits,_ZN2at6native12_GLOBAL__N_125multi_tensor_apply_kernelINS1_28TensorListScalarListMetadataIN3c107complexIdEELi2EEENS1_26TernaryOpScalarListFunctorIS6_Li2ELi2ELi0EEEJNS0_11LerpFunctorIS6_EEEEEvT_T0_DpT1_,comdat
.Lfunc_end32:
	.size	_ZN2at6native12_GLOBAL__N_125multi_tensor_apply_kernelINS1_28TensorListScalarListMetadataIN3c107complexIdEELi2EEENS1_26TernaryOpScalarListFunctorIS6_Li2ELi2ELi0EEEJNS0_11LerpFunctorIS6_EEEEEvT_T0_DpT1_, .Lfunc_end32-_ZN2at6native12_GLOBAL__N_125multi_tensor_apply_kernelINS1_28TensorListScalarListMetadataIN3c107complexIdEELi2EEENS1_26TernaryOpScalarListFunctorIS6_Li2ELi2ELi0EEEJNS0_11LerpFunctorIS6_EEEEEvT_T0_DpT1_
                                        ; -- End function
	.set _ZN2at6native12_GLOBAL__N_125multi_tensor_apply_kernelINS1_28TensorListScalarListMetadataIN3c107complexIdEELi2EEENS1_26TernaryOpScalarListFunctorIS6_Li2ELi2ELi0EEEJNS0_11LerpFunctorIS6_EEEEEvT_T0_DpT1_.num_vgpr, 53
	.set _ZN2at6native12_GLOBAL__N_125multi_tensor_apply_kernelINS1_28TensorListScalarListMetadataIN3c107complexIdEELi2EEENS1_26TernaryOpScalarListFunctorIS6_Li2ELi2ELi0EEEJNS0_11LerpFunctorIS6_EEEEEvT_T0_DpT1_.num_agpr, 0
	.set _ZN2at6native12_GLOBAL__N_125multi_tensor_apply_kernelINS1_28TensorListScalarListMetadataIN3c107complexIdEELi2EEENS1_26TernaryOpScalarListFunctorIS6_Li2ELi2ELi0EEEJNS0_11LerpFunctorIS6_EEEEEvT_T0_DpT1_.numbered_sgpr, 32
	.set _ZN2at6native12_GLOBAL__N_125multi_tensor_apply_kernelINS1_28TensorListScalarListMetadataIN3c107complexIdEELi2EEENS1_26TernaryOpScalarListFunctorIS6_Li2ELi2ELi0EEEJNS0_11LerpFunctorIS6_EEEEEvT_T0_DpT1_.num_named_barrier, 0
	.set _ZN2at6native12_GLOBAL__N_125multi_tensor_apply_kernelINS1_28TensorListScalarListMetadataIN3c107complexIdEELi2EEENS1_26TernaryOpScalarListFunctorIS6_Li2ELi2ELi0EEEJNS0_11LerpFunctorIS6_EEEEEvT_T0_DpT1_.private_seg_size, 0
	.set _ZN2at6native12_GLOBAL__N_125multi_tensor_apply_kernelINS1_28TensorListScalarListMetadataIN3c107complexIdEELi2EEENS1_26TernaryOpScalarListFunctorIS6_Li2ELi2ELi0EEEJNS0_11LerpFunctorIS6_EEEEEvT_T0_DpT1_.uses_vcc, 1
	.set _ZN2at6native12_GLOBAL__N_125multi_tensor_apply_kernelINS1_28TensorListScalarListMetadataIN3c107complexIdEELi2EEENS1_26TernaryOpScalarListFunctorIS6_Li2ELi2ELi0EEEJNS0_11LerpFunctorIS6_EEEEEvT_T0_DpT1_.uses_flat_scratch, 0
	.set _ZN2at6native12_GLOBAL__N_125multi_tensor_apply_kernelINS1_28TensorListScalarListMetadataIN3c107complexIdEELi2EEENS1_26TernaryOpScalarListFunctorIS6_Li2ELi2ELi0EEEJNS0_11LerpFunctorIS6_EEEEEvT_T0_DpT1_.has_dyn_sized_stack, 0
	.set _ZN2at6native12_GLOBAL__N_125multi_tensor_apply_kernelINS1_28TensorListScalarListMetadataIN3c107complexIdEELi2EEENS1_26TernaryOpScalarListFunctorIS6_Li2ELi2ELi0EEEJNS0_11LerpFunctorIS6_EEEEEvT_T0_DpT1_.has_recursion, 0
	.set _ZN2at6native12_GLOBAL__N_125multi_tensor_apply_kernelINS1_28TensorListScalarListMetadataIN3c107complexIdEELi2EEENS1_26TernaryOpScalarListFunctorIS6_Li2ELi2ELi0EEEJNS0_11LerpFunctorIS6_EEEEEvT_T0_DpT1_.has_indirect_call, 0
	.section	.AMDGPU.csdata,"",@progbits
; Kernel info:
; codeLenInByte = 2524
; TotalNumSgprs: 36
; NumVgprs: 53
; ScratchSize: 0
; MemoryBound: 1
; FloatMode: 240
; IeeeMode: 1
; LDSByteSize: 0 bytes/workgroup (compile time only)
; SGPRBlocks: 4
; VGPRBlocks: 13
; NumSGPRsForWavesPerEU: 36
; NumVGPRsForWavesPerEU: 53
; Occupancy: 4
; WaveLimiterHint : 0
; COMPUTE_PGM_RSRC2:SCRATCH_EN: 0
; COMPUTE_PGM_RSRC2:USER_SGPR: 6
; COMPUTE_PGM_RSRC2:TRAP_HANDLER: 0
; COMPUTE_PGM_RSRC2:TGID_X_EN: 1
; COMPUTE_PGM_RSRC2:TGID_Y_EN: 0
; COMPUTE_PGM_RSRC2:TGID_Z_EN: 0
; COMPUTE_PGM_RSRC2:TIDIG_COMP_CNT: 0
	.section	.text._ZN2at6native12_GLOBAL__N_125multi_tensor_apply_kernelINS1_28TensorListScalarListMetadataIN3c107complexIfEELi2EEENS1_26TernaryOpScalarListFunctorIS6_Li2ELi2ELi0EEEJNS0_11LerpFunctorIS6_EEEEEvT_T0_DpT1_,"axG",@progbits,_ZN2at6native12_GLOBAL__N_125multi_tensor_apply_kernelINS1_28TensorListScalarListMetadataIN3c107complexIfEELi2EEENS1_26TernaryOpScalarListFunctorIS6_Li2ELi2ELi0EEEJNS0_11LerpFunctorIS6_EEEEEvT_T0_DpT1_,comdat
	.globl	_ZN2at6native12_GLOBAL__N_125multi_tensor_apply_kernelINS1_28TensorListScalarListMetadataIN3c107complexIfEELi2EEENS1_26TernaryOpScalarListFunctorIS6_Li2ELi2ELi0EEEJNS0_11LerpFunctorIS6_EEEEEvT_T0_DpT1_ ; -- Begin function _ZN2at6native12_GLOBAL__N_125multi_tensor_apply_kernelINS1_28TensorListScalarListMetadataIN3c107complexIfEELi2EEENS1_26TernaryOpScalarListFunctorIS6_Li2ELi2ELi0EEEJNS0_11LerpFunctorIS6_EEEEEvT_T0_DpT1_
	.p2align	8
	.type	_ZN2at6native12_GLOBAL__N_125multi_tensor_apply_kernelINS1_28TensorListScalarListMetadataIN3c107complexIfEELi2EEENS1_26TernaryOpScalarListFunctorIS6_Li2ELi2ELi0EEEJNS0_11LerpFunctorIS6_EEEEEvT_T0_DpT1_,@function
_ZN2at6native12_GLOBAL__N_125multi_tensor_apply_kernelINS1_28TensorListScalarListMetadataIN3c107complexIfEELi2EEENS1_26TernaryOpScalarListFunctorIS6_Li2ELi2ELi0EEEJNS0_11LerpFunctorIS6_EEEEEvT_T0_DpT1_: ; @_ZN2at6native12_GLOBAL__N_125multi_tensor_apply_kernelINS1_28TensorListScalarListMetadataIN3c107complexIfEELi2EEENS1_26TernaryOpScalarListFunctorIS6_Li2ELi2ELi0EEEJNS0_11LerpFunctorIS6_EEEEEvT_T0_DpT1_
; %bb.0:
	v_mov_b32_e32 v1, s6
	global_load_ubyte v1, v1, s[4:5] offset:2048
	s_add_u32 s0, s4, s6
	s_mul_hi_u32 s1, s6, 3
	s_mul_i32 s6, s6, 3
	s_addc_u32 s2, s5, 0
	s_add_u32 s0, s0, s6
	s_addc_u32 s1, s2, s1
	s_load_dword s0, s[0:1], 0x940
	s_mov_b32 s3, 0
	s_mov_b32 s9, s3
	s_waitcnt lgkmcnt(0)
	s_ashr_i32 s1, s0, 31
	s_lshl_b64 s[18:19], s[0:1], 19
	s_waitcnt vmcnt(0)
	v_readfirstlane_b32 s2, v1
	s_lshl_b32 s2, s2, 3
	s_load_dwordx2 s[6:7], s[4:5], s2 offset:0x0
	s_load_dwordx2 s[10:11], s[4:5], s2 offset:0x400
	s_load_dwordx2 s[12:13], s[4:5], s2 offset:0x600
	s_load_dwordx2 s[16:17], s[4:5], s2 offset:0x200
	s_waitcnt lgkmcnt(0)
	s_add_u32 s14, s6, s18
	s_addc_u32 s15, s7, s19
	s_and_b32 s2, s14, 31
	s_add_u32 s16, s16, s18
	s_addc_u32 s17, s17, s19
	s_lshl_b64 s[0:1], s[0:1], 16
	s_and_b32 s8, s16, 31
	s_sub_u32 s6, s10, s0
	s_subb_u32 s7, s11, s1
	s_and_b32 s0, s10, 3
	s_mov_b32 s1, s3
	s_or_b64 s[0:1], s[8:9], s[0:1]
	s_or_b64 s[0:1], s[0:1], s[2:3]
	s_cmp_eq_u64 s[0:1], 0
	s_mov_b64 s[0:1], -1
	s_cbranch_scc0 .LBB33_21
; %bb.1:
	v_mov_b32_e32 v1, 0x10000
	v_mov_b32_e32 v2, 0
	v_cmp_lt_i64_e32 vcc, s[6:7], v[1:2]
	v_mov_b32_e32 v2, 0
	s_and_b64 s[0:1], vcc, exec
	s_cselect_b32 s9, s7, 0
	s_cselect_b32 s8, s6, 0x10000
	v_lshlrev_b32_e32 v1, 2, v0
	v_cmp_gt_i64_e32 vcc, s[8:9], v[1:2]
	s_and_saveexec_b64 s[10:11], vcc
	s_cbranch_execz .LBB33_20
; %bb.2:
	s_load_dword s2, s[4:5], 0xe54
	v_mov_b32_e32 v1, v2
	v_mul_f32_e64 v2, s13, s13
	v_fmac_f32_e64 v2, s12, s12
	s_mov_b32 s0, 0x3e800000
	s_waitcnt lgkmcnt(0)
	s_and_b32 s26, s2, 0xffff
	v_mov_b32_e32 v22, v1
	v_cmp_ngt_f32_e64 s[0:1], s0, v2
	v_sub_f32_e64 v25, 1.0, s12
	v_sub_f32_e64 v26, 0, s13
	v_lshlrev_b32_e32 v27, 5, v0
	s_lshl_b32 s27, s26, 5
	s_mov_b64 s[18:19], 0
	s_mov_b64 s[20:21], s[14:15]
	;; [unrolled: 1-line block ×3, first 2 shown]
	v_mov_b32_e32 v21, v0
	s_branch .LBB33_4
.LBB33_3:                               ;   in Loop: Header=BB33_4 Depth=1
	v_add_co_u32_e32 v21, vcc, s26, v21
	v_addc_co_u32_e32 v22, vcc, 0, v22, vcc
	v_lshlrev_b64 v[1:2], 2, v[21:22]
	s_add_u32 s22, s22, s27
	s_addc_u32 s23, s23, 0
	s_add_u32 s20, s20, s27
	v_cmp_le_i64_e32 vcc, s[8:9], v[1:2]
	s_addc_u32 s21, s21, 0
	s_or_b64 s[18:19], vcc, s[18:19]
	global_store_dwordx4 v[23:24], v[5:8], off
	global_store_dwordx4 v[23:24], v[13:16], off offset:16
	s_andn2_b64 exec, exec, s[18:19]
	s_cbranch_execz .LBB33_20
.LBB33_4:                               ; =>This Inner Loop Header: Depth=1
	v_mov_b32_e32 v1, s21
	v_add_co_u32_e32 v23, vcc, s20, v27
	v_addc_co_u32_e32 v24, vcc, 0, v1, vcc
	v_mov_b32_e32 v1, s23
	v_add_co_u32_e32 v5, vcc, s22, v27
	v_addc_co_u32_e32 v6, vcc, 0, v1, vcc
	global_load_dwordx4 v[17:20], v[5:6], off
	global_load_dwordx4 v[13:16], v[23:24], off
	global_load_dwordx4 v[1:4], v[23:24], off offset:16
	global_load_dwordx4 v[9:12], v[5:6], off offset:16
	s_mov_b64 s[2:3], -1
	s_and_b64 vcc, exec, s[0:1]
                                        ; implicit-def: $vgpr6
	s_waitcnt vmcnt(2)
	v_sub_f32_e32 v7, v17, v13
	v_sub_f32_e32 v8, v18, v14
	s_cbranch_vccz .LBB33_6
; %bb.5:                                ;   in Loop: Header=BB33_4 Depth=1
	v_mul_f32_e32 v5, v26, v8
	v_mul_f32_e32 v6, v25, v8
	v_fma_f32 v5, v25, v7, -v5
	v_fmac_f32_e32 v6, v26, v7
	v_sub_f32_e32 v5, v17, v5
	v_sub_f32_e32 v6, v18, v6
	s_mov_b64 s[2:3], 0
.LBB33_6:                               ;   in Loop: Header=BB33_4 Depth=1
	s_andn2_b64 vcc, exec, s[2:3]
	s_cbranch_vccnz .LBB33_8
; %bb.7:                                ;   in Loop: Header=BB33_4 Depth=1
	v_mul_f32_e32 v5, s13, v8
	v_mul_f32_e32 v6, s12, v8
	v_fma_f32 v5, v7, s12, -v5
	v_fmac_f32_e32 v6, s13, v7
	v_add_f32_e32 v5, v13, v5
	v_add_f32_e32 v6, v14, v6
.LBB33_8:                               ;   in Loop: Header=BB33_4 Depth=1
	v_cndmask_b32_e64 v7, 0, 1, s[0:1]
	v_sub_f32_e32 v13, v19, v15
	v_sub_f32_e32 v14, v20, v16
	v_cmp_ne_u32_e64 s[2:3], 1, v7
	s_andn2_b64 vcc, exec, s[0:1]
	s_mov_b64 s[24:25], -1
	s_cbranch_vccnz .LBB33_10
; %bb.9:                                ;   in Loop: Header=BB33_4 Depth=1
	v_mul_f32_e32 v7, v26, v14
	v_mul_f32_e32 v8, v25, v14
	v_fma_f32 v7, v25, v13, -v7
	v_fmac_f32_e32 v8, v26, v13
	v_sub_f32_e32 v7, v19, v7
	v_sub_f32_e32 v8, v20, v8
	s_mov_b64 s[24:25], 0
.LBB33_10:                              ;   in Loop: Header=BB33_4 Depth=1
	s_andn2_b64 vcc, exec, s[24:25]
	s_cbranch_vccnz .LBB33_12
; %bb.11:                               ;   in Loop: Header=BB33_4 Depth=1
	v_mul_f32_e32 v7, s13, v14
	v_mul_f32_e32 v8, s12, v14
	v_fma_f32 v7, v13, s12, -v7
	v_fmac_f32_e32 v8, s13, v13
	v_add_f32_e32 v7, v15, v7
	v_add_f32_e32 v8, v16, v8
.LBB33_12:                              ;   in Loop: Header=BB33_4 Depth=1
	s_waitcnt vmcnt(0)
	v_sub_f32_e32 v15, v9, v1
	v_sub_f32_e32 v16, v10, v2
	s_and_b64 vcc, exec, s[2:3]
	s_mov_b64 s[24:25], -1
                                        ; implicit-def: $vgpr14
	s_cbranch_vccnz .LBB33_14
; %bb.13:                               ;   in Loop: Header=BB33_4 Depth=1
	v_mul_f32_e32 v13, v26, v16
	v_mul_f32_e32 v14, v25, v16
	v_fma_f32 v13, v25, v15, -v13
	v_fmac_f32_e32 v14, v26, v15
	v_sub_f32_e32 v13, v9, v13
	v_sub_f32_e32 v14, v10, v14
	s_mov_b64 s[24:25], 0
.LBB33_14:                              ;   in Loop: Header=BB33_4 Depth=1
	s_andn2_b64 vcc, exec, s[24:25]
	s_cbranch_vccnz .LBB33_16
; %bb.15:                               ;   in Loop: Header=BB33_4 Depth=1
	v_mul_f32_e32 v9, s13, v16
	v_mul_f32_e32 v10, s12, v16
	v_fma_f32 v9, v15, s12, -v9
	v_fmac_f32_e32 v10, s13, v15
	v_add_f32_e32 v13, v1, v9
	v_add_f32_e32 v14, v2, v10
.LBB33_16:                              ;   in Loop: Header=BB33_4 Depth=1
	v_sub_f32_e32 v1, v11, v3
	v_sub_f32_e32 v2, v12, v4
	s_and_b64 vcc, exec, s[2:3]
	s_mov_b64 s[2:3], -1
	s_cbranch_vccnz .LBB33_18
; %bb.17:                               ;   in Loop: Header=BB33_4 Depth=1
	v_mul_f32_e32 v9, v26, v2
	v_mul_f32_e32 v10, v25, v2
	v_fma_f32 v9, v25, v1, -v9
	v_fmac_f32_e32 v10, v26, v1
	v_sub_f32_e32 v15, v11, v9
	v_sub_f32_e32 v16, v12, v10
	s_mov_b64 s[2:3], 0
.LBB33_18:                              ;   in Loop: Header=BB33_4 Depth=1
	s_andn2_b64 vcc, exec, s[2:3]
	s_cbranch_vccnz .LBB33_3
; %bb.19:                               ;   in Loop: Header=BB33_4 Depth=1
	v_mul_f32_e32 v9, s13, v2
	v_mul_f32_e32 v2, s12, v2
	v_fma_f32 v9, v1, s12, -v9
	v_fmac_f32_e32 v2, s13, v1
	v_add_f32_e32 v15, v3, v9
	v_add_f32_e32 v16, v4, v2
	s_branch .LBB33_3
.LBB33_20:
	s_or_b64 exec, exec, s[10:11]
	s_mov_b64 s[0:1], 0
.LBB33_21:
	s_andn2_b64 vcc, exec, s[0:1]
	s_cbranch_vccnz .LBB33_57
; %bb.22:
	v_cmp_lt_i64_e64 s[0:1], s[6:7], 1
	s_and_b64 vcc, exec, s[0:1]
	s_cbranch_vccnz .LBB33_57
; %bb.23:
	v_mov_b32_e32 v1, 0x10000
	s_load_dword s2, s[4:5], 0xe54
	v_mov_b32_e32 v2, 0
	v_cmp_lt_i64_e32 vcc, s[6:7], v[1:2]
	v_sub_f32_e64 v27, 1.0, s12
	s_and_b64 s[0:1], vcc, exec
	v_cmp_lt_u64_e32 vcc, s[6:7], v[1:2]
	s_cselect_b32 s19, s7, 0
	s_cselect_b32 s18, s6, 0x10000
	s_waitcnt lgkmcnt(0)
	s_and_b32 s26, s2, 0xffff
	s_and_b64 s[0:1], vcc, exec
	v_mul_f32_e64 v1, s13, s13
	v_fmac_f32_e64 v1, s12, s12
	s_mov_b32 s0, 0x3e800000
	s_cselect_b32 s21, s7, 0
	s_cselect_b32 s20, s6, 0x10000
	s_lshl_b32 s27, s26, 1
	s_mul_i32 s28, s26, 3
	v_cmp_ngt_f32_e64 s[0:1], s0, v1
	v_sub_f32_e64 v28, 0, s13
	s_lshl_b32 s29, s26, 2
	s_mov_b64 s[22:23], 0
	s_branch .LBB33_25
.LBB33_24:                              ;   in Loop: Header=BB33_25 Depth=1
	s_or_b64 exec, exec, s[2:3]
	s_add_u32 s22, s22, s29
	v_mov_b32_e32 v1, s18
	s_addc_u32 s23, s23, 0
	v_mov_b32_e32 v2, s19
	v_cmp_ge_i64_e32 vcc, s[22:23], v[1:2]
	s_cbranch_vccnz .LBB33_57
.LBB33_25:                              ; =>This Inner Loop Header: Depth=1
	v_mov_b32_e32 v2, s23
	v_add_co_u32_e32 v1, vcc, s22, v0
	v_addc_co_u32_e32 v2, vcc, 0, v2, vcc
	v_cmp_gt_u64_e64 s[2:3], s[20:21], v[1:2]
	v_mov_b32_e32 v26, 0
	v_mov_b32_e32 v25, 0
	;; [unrolled: 1-line block ×4, first 2 shown]
	s_and_saveexec_b64 s[4:5], s[2:3]
	s_cbranch_execz .LBB33_27
; %bb.26:                               ;   in Loop: Header=BB33_25 Depth=1
	v_lshlrev_b64 v[3:4], 3, v[1:2]
	v_mov_b32_e32 v6, s17
	v_add_co_u32_e32 v5, vcc, s16, v3
	v_addc_co_u32_e32 v6, vcc, v6, v4, vcc
	v_mov_b32_e32 v7, s15
	v_add_co_u32_e32 v3, vcc, s14, v3
	v_addc_co_u32_e32 v4, vcc, v7, v4, vcc
	global_load_dwordx2 v[17:18], v[3:4], off
	global_load_dwordx2 v[25:26], v[5:6], off
.LBB33_27:                              ;   in Loop: Header=BB33_25 Depth=1
	s_or_b64 exec, exec, s[4:5]
	v_add_co_u32_e32 v3, vcc, s26, v1
	v_addc_co_u32_e32 v4, vcc, 0, v2, vcc
	v_cmp_gt_u64_e64 s[4:5], s[20:21], v[3:4]
	v_mov_b32_e32 v10, 0
	v_mov_b32_e32 v22, 0
	;; [unrolled: 1-line block ×5, first 2 shown]
	s_and_saveexec_b64 s[6:7], s[4:5]
	s_cbranch_execz .LBB33_29
; %bb.28:                               ;   in Loop: Header=BB33_25 Depth=1
	v_lshlrev_b64 v[5:6], 3, v[3:4]
	v_mov_b32_e32 v8, s17
	v_add_co_u32_e32 v7, vcc, s16, v5
	v_addc_co_u32_e32 v8, vcc, v8, v6, vcc
	v_mov_b32_e32 v9, s15
	v_add_co_u32_e32 v5, vcc, s14, v5
	v_addc_co_u32_e32 v6, vcc, v9, v6, vcc
	global_load_dwordx2 v[11:12], v[5:6], off
	global_load_dwordx2 v[21:22], v[7:8], off
.LBB33_29:                              ;   in Loop: Header=BB33_25 Depth=1
	s_or_b64 exec, exec, s[6:7]
	v_add_co_u32_e32 v5, vcc, s27, v1
	v_addc_co_u32_e32 v6, vcc, 0, v2, vcc
	v_cmp_gt_u64_e64 s[6:7], s[20:21], v[5:6]
	v_mov_b32_e32 v9, 0
	v_mov_b32_e32 v14, 0
	;; [unrolled: 1-line block ×3, first 2 shown]
	s_and_saveexec_b64 s[8:9], s[6:7]
	s_cbranch_execz .LBB33_31
; %bb.30:                               ;   in Loop: Header=BB33_25 Depth=1
	v_lshlrev_b64 v[7:8], 3, v[5:6]
	v_mov_b32_e32 v9, s17
	v_add_co_u32_e32 v15, vcc, s16, v7
	v_addc_co_u32_e32 v16, vcc, v9, v8, vcc
	v_mov_b32_e32 v9, s15
	v_add_co_u32_e32 v7, vcc, s14, v7
	v_addc_co_u32_e32 v8, vcc, v9, v8, vcc
	global_load_dwordx2 v[13:14], v[7:8], off
	global_load_dwordx2 v[9:10], v[15:16], off
.LBB33_31:                              ;   in Loop: Header=BB33_25 Depth=1
	s_or_b64 exec, exec, s[8:9]
	v_add_co_u32_e32 v7, vcc, s28, v1
	v_addc_co_u32_e32 v8, vcc, 0, v2, vcc
	v_cmp_gt_u64_e64 s[8:9], s[20:21], v[7:8]
	v_mov_b32_e32 v24, 0
	v_mov_b32_e32 v23, 0
	;; [unrolled: 1-line block ×4, first 2 shown]
	s_and_saveexec_b64 s[10:11], s[8:9]
	s_cbranch_execz .LBB33_33
; %bb.32:                               ;   in Loop: Header=BB33_25 Depth=1
	v_lshlrev_b64 v[15:16], 3, v[7:8]
	v_mov_b32_e32 v20, s17
	v_add_co_u32_e32 v19, vcc, s16, v15
	v_addc_co_u32_e32 v20, vcc, v20, v16, vcc
	v_mov_b32_e32 v23, s15
	v_add_co_u32_e32 v29, vcc, s14, v15
	v_addc_co_u32_e32 v30, vcc, v23, v16, vcc
	global_load_dwordx2 v[15:16], v[29:30], off
	global_load_dwordx2 v[23:24], v[19:20], off
.LBB33_33:                              ;   in Loop: Header=BB33_25 Depth=1
	s_or_b64 exec, exec, s[10:11]
	s_waitcnt vmcnt(0)
	v_sub_f32_e32 v30, v25, v17
	v_sub_f32_e32 v29, v26, v18
	s_mov_b64 s[10:11], -1
	s_and_b64 vcc, exec, s[0:1]
                                        ; implicit-def: $vgpr20
	s_cbranch_vccz .LBB33_35
; %bb.34:                               ;   in Loop: Header=BB33_25 Depth=1
	v_mul_f32_e32 v19, v28, v29
	v_mul_f32_e32 v20, v28, v30
	v_fma_f32 v19, v27, v30, -v19
	v_fmac_f32_e32 v20, v27, v29
	v_sub_f32_e32 v19, v25, v19
	v_sub_f32_e32 v20, v26, v20
	s_mov_b64 s[10:11], 0
.LBB33_35:                              ;   in Loop: Header=BB33_25 Depth=1
	s_andn2_b64 vcc, exec, s[10:11]
	s_cbranch_vccnz .LBB33_37
; %bb.36:                               ;   in Loop: Header=BB33_25 Depth=1
	v_mul_f32_e32 v19, s13, v29
	v_mul_f32_e32 v20, s13, v30
	v_fma_f32 v19, v30, s12, -v19
	v_fmac_f32_e32 v20, s12, v29
	v_add_f32_e32 v19, v17, v19
	v_add_f32_e32 v20, v18, v20
.LBB33_37:                              ;   in Loop: Header=BB33_25 Depth=1
	v_cndmask_b32_e64 v17, 0, 1, s[0:1]
	v_sub_f32_e32 v26, v21, v11
	v_sub_f32_e32 v25, v22, v12
	v_cmp_ne_u32_e64 s[10:11], 1, v17
	s_andn2_b64 vcc, exec, s[0:1]
	s_mov_b64 s[24:25], -1
                                        ; implicit-def: $vgpr18
	s_cbranch_vccnz .LBB33_39
; %bb.38:                               ;   in Loop: Header=BB33_25 Depth=1
	v_mul_f32_e32 v17, v28, v25
	v_mul_f32_e32 v18, v28, v26
	v_fma_f32 v17, v27, v26, -v17
	v_fmac_f32_e32 v18, v27, v25
	v_sub_f32_e32 v17, v21, v17
	v_sub_f32_e32 v18, v22, v18
	s_mov_b64 s[24:25], 0
.LBB33_39:                              ;   in Loop: Header=BB33_25 Depth=1
	s_andn2_b64 vcc, exec, s[24:25]
	s_cbranch_vccnz .LBB33_41
; %bb.40:                               ;   in Loop: Header=BB33_25 Depth=1
	v_mul_f32_e32 v17, s13, v25
	v_mul_f32_e32 v18, s13, v26
	v_fma_f32 v17, v26, s12, -v17
	v_fmac_f32_e32 v18, s12, v25
	v_add_f32_e32 v17, v11, v17
	v_add_f32_e32 v18, v12, v18
.LBB33_41:                              ;   in Loop: Header=BB33_25 Depth=1
	v_sub_f32_e32 v22, v9, v13
	v_sub_f32_e32 v21, v10, v14
	s_and_b64 vcc, exec, s[10:11]
	s_mov_b64 s[24:25], -1
                                        ; implicit-def: $vgpr12
	s_cbranch_vccnz .LBB33_43
; %bb.42:                               ;   in Loop: Header=BB33_25 Depth=1
	v_mul_f32_e32 v11, v28, v21
	v_mul_f32_e32 v12, v28, v22
	v_fma_f32 v11, v27, v22, -v11
	v_fmac_f32_e32 v12, v27, v21
	v_sub_f32_e32 v11, v9, v11
	v_sub_f32_e32 v12, v10, v12
	s_mov_b64 s[24:25], 0
.LBB33_43:                              ;   in Loop: Header=BB33_25 Depth=1
	s_andn2_b64 vcc, exec, s[24:25]
	s_cbranch_vccnz .LBB33_45
; %bb.44:                               ;   in Loop: Header=BB33_25 Depth=1
	v_mul_f32_e32 v9, s13, v21
	v_mul_f32_e32 v10, s13, v22
	v_fma_f32 v9, v22, s12, -v9
	v_fmac_f32_e32 v10, s12, v21
	v_add_f32_e32 v11, v13, v9
	v_add_f32_e32 v12, v14, v10
.LBB33_45:                              ;   in Loop: Header=BB33_25 Depth=1
	v_sub_f32_e32 v14, v23, v15
	v_sub_f32_e32 v13, v24, v16
	s_and_b64 vcc, exec, s[10:11]
	s_mov_b64 s[10:11], -1
                                        ; implicit-def: $vgpr10
	s_cbranch_vccz .LBB33_51
; %bb.46:                               ;   in Loop: Header=BB33_25 Depth=1
	s_andn2_b64 vcc, exec, s[10:11]
	s_cbranch_vccz .LBB33_52
.LBB33_47:                              ;   in Loop: Header=BB33_25 Depth=1
	s_and_saveexec_b64 s[10:11], s[2:3]
	s_xor_b64 s[2:3], exec, s[10:11]
	s_cbranch_execnz .LBB33_53
.LBB33_48:                              ;   in Loop: Header=BB33_25 Depth=1
	s_or_b64 exec, exec, s[2:3]
	s_and_saveexec_b64 s[2:3], s[4:5]
	s_cbranch_execnz .LBB33_54
.LBB33_49:                              ;   in Loop: Header=BB33_25 Depth=1
	s_or_b64 exec, exec, s[2:3]
	s_and_saveexec_b64 s[2:3], s[6:7]
	s_cbranch_execnz .LBB33_55
.LBB33_50:                              ;   in Loop: Header=BB33_25 Depth=1
	s_or_b64 exec, exec, s[2:3]
	s_and_saveexec_b64 s[2:3], s[8:9]
	s_cbranch_execz .LBB33_24
	s_branch .LBB33_56
.LBB33_51:                              ;   in Loop: Header=BB33_25 Depth=1
	v_mul_f32_e32 v9, v28, v13
	v_mul_f32_e32 v10, v28, v14
	v_fma_f32 v9, v27, v14, -v9
	v_fmac_f32_e32 v10, v27, v13
	v_sub_f32_e32 v9, v23, v9
	v_sub_f32_e32 v10, v24, v10
	s_cbranch_execnz .LBB33_47
.LBB33_52:                              ;   in Loop: Header=BB33_25 Depth=1
	v_mul_f32_e32 v9, s13, v13
	v_mul_f32_e32 v10, s13, v14
	v_fma_f32 v9, v14, s12, -v9
	v_fmac_f32_e32 v10, s12, v13
	v_add_f32_e32 v9, v15, v9
	v_add_f32_e32 v10, v16, v10
	s_and_saveexec_b64 s[10:11], s[2:3]
	s_xor_b64 s[2:3], exec, s[10:11]
	s_cbranch_execz .LBB33_48
.LBB33_53:                              ;   in Loop: Header=BB33_25 Depth=1
	v_lshlrev_b64 v[1:2], 3, v[1:2]
	v_mov_b32_e32 v13, s15
	v_add_co_u32_e32 v1, vcc, s14, v1
	v_addc_co_u32_e32 v2, vcc, v13, v2, vcc
	global_store_dwordx2 v[1:2], v[19:20], off
	s_or_b64 exec, exec, s[2:3]
	s_and_saveexec_b64 s[2:3], s[4:5]
	s_cbranch_execz .LBB33_49
.LBB33_54:                              ;   in Loop: Header=BB33_25 Depth=1
	v_lshlrev_b64 v[1:2], 3, v[3:4]
	v_mov_b32_e32 v3, s15
	v_add_co_u32_e32 v1, vcc, s14, v1
	v_addc_co_u32_e32 v2, vcc, v3, v2, vcc
	global_store_dwordx2 v[1:2], v[17:18], off
	s_or_b64 exec, exec, s[2:3]
	s_and_saveexec_b64 s[2:3], s[6:7]
	s_cbranch_execz .LBB33_50
.LBB33_55:                              ;   in Loop: Header=BB33_25 Depth=1
	v_lshlrev_b64 v[1:2], 3, v[5:6]
	v_mov_b32_e32 v3, s15
	v_add_co_u32_e32 v1, vcc, s14, v1
	v_addc_co_u32_e32 v2, vcc, v3, v2, vcc
	global_store_dwordx2 v[1:2], v[11:12], off
	s_or_b64 exec, exec, s[2:3]
	s_and_saveexec_b64 s[2:3], s[8:9]
	s_cbranch_execz .LBB33_24
.LBB33_56:                              ;   in Loop: Header=BB33_25 Depth=1
	v_lshlrev_b64 v[1:2], 3, v[7:8]
	v_mov_b32_e32 v3, s15
	v_add_co_u32_e32 v1, vcc, s14, v1
	v_addc_co_u32_e32 v2, vcc, v3, v2, vcc
	global_store_dwordx2 v[1:2], v[9:10], off
	s_branch .LBB33_24
.LBB33_57:
	s_endpgm
	.section	.rodata,"a",@progbits
	.p2align	6, 0x0
	.amdhsa_kernel _ZN2at6native12_GLOBAL__N_125multi_tensor_apply_kernelINS1_28TensorListScalarListMetadataIN3c107complexIfEELi2EEENS1_26TernaryOpScalarListFunctorIS6_Li2ELi2ELi0EEEJNS0_11LerpFunctorIS6_EEEEEvT_T0_DpT1_
		.amdhsa_group_segment_fixed_size 0
		.amdhsa_private_segment_fixed_size 0
		.amdhsa_kernarg_size 3912
		.amdhsa_user_sgpr_count 6
		.amdhsa_user_sgpr_private_segment_buffer 1
		.amdhsa_user_sgpr_dispatch_ptr 0
		.amdhsa_user_sgpr_queue_ptr 0
		.amdhsa_user_sgpr_kernarg_segment_ptr 1
		.amdhsa_user_sgpr_dispatch_id 0
		.amdhsa_user_sgpr_flat_scratch_init 0
		.amdhsa_user_sgpr_private_segment_size 0
		.amdhsa_uses_dynamic_stack 0
		.amdhsa_system_sgpr_private_segment_wavefront_offset 0
		.amdhsa_system_sgpr_workgroup_id_x 1
		.amdhsa_system_sgpr_workgroup_id_y 0
		.amdhsa_system_sgpr_workgroup_id_z 0
		.amdhsa_system_sgpr_workgroup_info 0
		.amdhsa_system_vgpr_workitem_id 0
		.amdhsa_next_free_vgpr 31
		.amdhsa_next_free_sgpr 30
		.amdhsa_reserve_vcc 1
		.amdhsa_reserve_flat_scratch 0
		.amdhsa_float_round_mode_32 0
		.amdhsa_float_round_mode_16_64 0
		.amdhsa_float_denorm_mode_32 3
		.amdhsa_float_denorm_mode_16_64 3
		.amdhsa_dx10_clamp 1
		.amdhsa_ieee_mode 1
		.amdhsa_fp16_overflow 0
		.amdhsa_exception_fp_ieee_invalid_op 0
		.amdhsa_exception_fp_denorm_src 0
		.amdhsa_exception_fp_ieee_div_zero 0
		.amdhsa_exception_fp_ieee_overflow 0
		.amdhsa_exception_fp_ieee_underflow 0
		.amdhsa_exception_fp_ieee_inexact 0
		.amdhsa_exception_int_div_zero 0
	.end_amdhsa_kernel
	.section	.text._ZN2at6native12_GLOBAL__N_125multi_tensor_apply_kernelINS1_28TensorListScalarListMetadataIN3c107complexIfEELi2EEENS1_26TernaryOpScalarListFunctorIS6_Li2ELi2ELi0EEEJNS0_11LerpFunctorIS6_EEEEEvT_T0_DpT1_,"axG",@progbits,_ZN2at6native12_GLOBAL__N_125multi_tensor_apply_kernelINS1_28TensorListScalarListMetadataIN3c107complexIfEELi2EEENS1_26TernaryOpScalarListFunctorIS6_Li2ELi2ELi0EEEJNS0_11LerpFunctorIS6_EEEEEvT_T0_DpT1_,comdat
.Lfunc_end33:
	.size	_ZN2at6native12_GLOBAL__N_125multi_tensor_apply_kernelINS1_28TensorListScalarListMetadataIN3c107complexIfEELi2EEENS1_26TernaryOpScalarListFunctorIS6_Li2ELi2ELi0EEEJNS0_11LerpFunctorIS6_EEEEEvT_T0_DpT1_, .Lfunc_end33-_ZN2at6native12_GLOBAL__N_125multi_tensor_apply_kernelINS1_28TensorListScalarListMetadataIN3c107complexIfEELi2EEENS1_26TernaryOpScalarListFunctorIS6_Li2ELi2ELi0EEEJNS0_11LerpFunctorIS6_EEEEEvT_T0_DpT1_
                                        ; -- End function
	.set _ZN2at6native12_GLOBAL__N_125multi_tensor_apply_kernelINS1_28TensorListScalarListMetadataIN3c107complexIfEELi2EEENS1_26TernaryOpScalarListFunctorIS6_Li2ELi2ELi0EEEJNS0_11LerpFunctorIS6_EEEEEvT_T0_DpT1_.num_vgpr, 31
	.set _ZN2at6native12_GLOBAL__N_125multi_tensor_apply_kernelINS1_28TensorListScalarListMetadataIN3c107complexIfEELi2EEENS1_26TernaryOpScalarListFunctorIS6_Li2ELi2ELi0EEEJNS0_11LerpFunctorIS6_EEEEEvT_T0_DpT1_.num_agpr, 0
	.set _ZN2at6native12_GLOBAL__N_125multi_tensor_apply_kernelINS1_28TensorListScalarListMetadataIN3c107complexIfEELi2EEENS1_26TernaryOpScalarListFunctorIS6_Li2ELi2ELi0EEEJNS0_11LerpFunctorIS6_EEEEEvT_T0_DpT1_.numbered_sgpr, 30
	.set _ZN2at6native12_GLOBAL__N_125multi_tensor_apply_kernelINS1_28TensorListScalarListMetadataIN3c107complexIfEELi2EEENS1_26TernaryOpScalarListFunctorIS6_Li2ELi2ELi0EEEJNS0_11LerpFunctorIS6_EEEEEvT_T0_DpT1_.num_named_barrier, 0
	.set _ZN2at6native12_GLOBAL__N_125multi_tensor_apply_kernelINS1_28TensorListScalarListMetadataIN3c107complexIfEELi2EEENS1_26TernaryOpScalarListFunctorIS6_Li2ELi2ELi0EEEJNS0_11LerpFunctorIS6_EEEEEvT_T0_DpT1_.private_seg_size, 0
	.set _ZN2at6native12_GLOBAL__N_125multi_tensor_apply_kernelINS1_28TensorListScalarListMetadataIN3c107complexIfEELi2EEENS1_26TernaryOpScalarListFunctorIS6_Li2ELi2ELi0EEEJNS0_11LerpFunctorIS6_EEEEEvT_T0_DpT1_.uses_vcc, 1
	.set _ZN2at6native12_GLOBAL__N_125multi_tensor_apply_kernelINS1_28TensorListScalarListMetadataIN3c107complexIfEELi2EEENS1_26TernaryOpScalarListFunctorIS6_Li2ELi2ELi0EEEJNS0_11LerpFunctorIS6_EEEEEvT_T0_DpT1_.uses_flat_scratch, 0
	.set _ZN2at6native12_GLOBAL__N_125multi_tensor_apply_kernelINS1_28TensorListScalarListMetadataIN3c107complexIfEELi2EEENS1_26TernaryOpScalarListFunctorIS6_Li2ELi2ELi0EEEJNS0_11LerpFunctorIS6_EEEEEvT_T0_DpT1_.has_dyn_sized_stack, 0
	.set _ZN2at6native12_GLOBAL__N_125multi_tensor_apply_kernelINS1_28TensorListScalarListMetadataIN3c107complexIfEELi2EEENS1_26TernaryOpScalarListFunctorIS6_Li2ELi2ELi0EEEJNS0_11LerpFunctorIS6_EEEEEvT_T0_DpT1_.has_recursion, 0
	.set _ZN2at6native12_GLOBAL__N_125multi_tensor_apply_kernelINS1_28TensorListScalarListMetadataIN3c107complexIfEELi2EEENS1_26TernaryOpScalarListFunctorIS6_Li2ELi2ELi0EEEJNS0_11LerpFunctorIS6_EEEEEvT_T0_DpT1_.has_indirect_call, 0
	.section	.AMDGPU.csdata,"",@progbits
; Kernel info:
; codeLenInByte = 1996
; TotalNumSgprs: 34
; NumVgprs: 31
; ScratchSize: 0
; MemoryBound: 1
; FloatMode: 240
; IeeeMode: 1
; LDSByteSize: 0 bytes/workgroup (compile time only)
; SGPRBlocks: 4
; VGPRBlocks: 7
; NumSGPRsForWavesPerEU: 34
; NumVGPRsForWavesPerEU: 31
; Occupancy: 8
; WaveLimiterHint : 1
; COMPUTE_PGM_RSRC2:SCRATCH_EN: 0
; COMPUTE_PGM_RSRC2:USER_SGPR: 6
; COMPUTE_PGM_RSRC2:TRAP_HANDLER: 0
; COMPUTE_PGM_RSRC2:TGID_X_EN: 1
; COMPUTE_PGM_RSRC2:TGID_Y_EN: 0
; COMPUTE_PGM_RSRC2:TGID_Z_EN: 0
; COMPUTE_PGM_RSRC2:TIDIG_COMP_CNT: 0
	.section	.text._ZN2at6native12_GLOBAL__N_125multi_tensor_apply_kernelINS1_28TensorListScalarListMetadataIfLi2EEENS1_26TernaryOpScalarListFunctorIN3c104HalfELi2ELi2ELi0EEEJNS0_11LerpFunctorIfEEEEEvT_T0_DpT1_,"axG",@progbits,_ZN2at6native12_GLOBAL__N_125multi_tensor_apply_kernelINS1_28TensorListScalarListMetadataIfLi2EEENS1_26TernaryOpScalarListFunctorIN3c104HalfELi2ELi2ELi0EEEJNS0_11LerpFunctorIfEEEEEvT_T0_DpT1_,comdat
	.globl	_ZN2at6native12_GLOBAL__N_125multi_tensor_apply_kernelINS1_28TensorListScalarListMetadataIfLi2EEENS1_26TernaryOpScalarListFunctorIN3c104HalfELi2ELi2ELi0EEEJNS0_11LerpFunctorIfEEEEEvT_T0_DpT1_ ; -- Begin function _ZN2at6native12_GLOBAL__N_125multi_tensor_apply_kernelINS1_28TensorListScalarListMetadataIfLi2EEENS1_26TernaryOpScalarListFunctorIN3c104HalfELi2ELi2ELi0EEEJNS0_11LerpFunctorIfEEEEEvT_T0_DpT1_
	.p2align	8
	.type	_ZN2at6native12_GLOBAL__N_125multi_tensor_apply_kernelINS1_28TensorListScalarListMetadataIfLi2EEENS1_26TernaryOpScalarListFunctorIN3c104HalfELi2ELi2ELi0EEEJNS0_11LerpFunctorIfEEEEEvT_T0_DpT1_,@function
_ZN2at6native12_GLOBAL__N_125multi_tensor_apply_kernelINS1_28TensorListScalarListMetadataIfLi2EEENS1_26TernaryOpScalarListFunctorIN3c104HalfELi2ELi2ELi0EEEJNS0_11LerpFunctorIfEEEEEvT_T0_DpT1_: ; @_ZN2at6native12_GLOBAL__N_125multi_tensor_apply_kernelINS1_28TensorListScalarListMetadataIfLi2EEENS1_26TernaryOpScalarListFunctorIN3c104HalfELi2ELi2ELi0EEEJNS0_11LerpFunctorIfEEEEEvT_T0_DpT1_
; %bb.0:
	v_mov_b32_e32 v1, s6
	global_load_ubyte v1, v1, s[4:5] offset:1792
	s_add_u32 s0, s4, s6
	s_mul_hi_u32 s3, s6, 3
	s_mul_i32 s6, s6, 3
	s_addc_u32 s7, s5, 0
	s_add_u32 s2, s0, s6
	s_addc_u32 s3, s7, s3
	s_load_dword s8, s[2:3], 0x840
	s_mov_b32 s1, 0
	s_mov_b32 s13, s1
	v_mov_b32_e32 v2, 0
	s_waitcnt lgkmcnt(0)
	s_ashr_i32 s9, s8, 31
	s_waitcnt vmcnt(0)
	v_readfirstlane_b32 s0, v1
	v_lshlrev_b32_e32 v1, 2, v1
	v_sub_co_u32_e32 v1, vcc, 0, v1
	s_lshl_b32 s0, s0, 3
	v_subb_co_u32_e64 v3, s[2:3], 0, 0, vcc
	s_load_dwordx2 s[14:15], s[4:5], s0 offset:0x400
	s_load_dwordx2 s[6:7], s[4:5], s0 offset:0x0
	s_load_dwordx2 s[2:3], s[4:5], s0 offset:0x200
	s_add_u32 s0, s4, s0
	s_addc_u32 s12, s5, 0
	s_lshl_b64 s[10:11], s[8:9], 17
	v_mov_b32_e32 v4, s12
	v_add_co_u32_e32 v1, vcc, s0, v1
	v_addc_co_u32_e32 v3, vcc, v4, v3, vcc
	s_waitcnt lgkmcnt(0)
	s_add_u32 s0, s6, s10
	s_lshl_b64 s[8:9], s[8:9], 16
	v_readfirstlane_b32 s16, v1
	s_and_b32 s12, s2, 7
	v_readfirstlane_b32 s17, v3
	s_and_b32 s0, s0, 7
	s_load_dword s20, s[16:17], 0x600
	s_sub_u32 s8, s14, s8
	s_subb_u32 s9, s15, s9
	s_and_b32 s14, s14, 3
	s_mov_b32 s15, s1
	s_or_b64 s[12:13], s[12:13], s[14:15]
	s_or_b64 s[0:1], s[12:13], s[0:1]
	s_cmp_eq_u64 s[0:1], 0
	s_mov_b64 s[0:1], -1
	s_cbranch_scc0 .LBB34_5
; %bb.1:
	v_mov_b32_e32 v3, 0x10000
	v_mov_b32_e32 v4, 0
	v_cmp_lt_i64_e32 vcc, s[8:9], v[3:4]
	v_lshlrev_b32_e32 v1, 2, v0
	s_and_b64 s[0:1], vcc, exec
	s_cselect_b32 s13, s9, 0
	s_cselect_b32 s12, s8, 0x10000
	v_cmp_gt_i64_e32 vcc, s[12:13], v[1:2]
	s_and_saveexec_b64 s[14:15], vcc
	s_cbranch_execz .LBB34_4
; %bb.2:
	s_load_dword s0, s[4:5], 0xd54
	v_mov_b32_e32 v1, v2
	v_lshlrev_b32_e32 v2, 3, v0
	v_mov_b32_e32 v5, s11
	s_waitcnt lgkmcnt(0)
	v_cmp_lt_f32_e64 vcc, |s20|, 0.5
	s_and_b32 s18, s0, 0xffff
	v_add_co_u32_e64 v4, s[0:1], s10, v2
	v_mov_b32_e32 v2, v1
	v_sub_f32_e64 v3, 1.0, s20
	v_addc_co_u32_e64 v5, s[0:1], 0, v5, s[0:1]
	s_lshl_b32 s19, s18, 3
	s_mov_b64 s[16:17], 0
	v_mov_b32_e32 v6, s7
	v_mov_b32_e32 v7, s3
	;; [unrolled: 1-line block ×3, first 2 shown]
.LBB34_3:                               ; =>This Inner Loop Header: Depth=1
	v_add_co_u32_e64 v8, s[0:1], s6, v4
	v_addc_co_u32_e64 v9, s[0:1], v6, v5, s[0:1]
	v_add_co_u32_e64 v10, s[0:1], s2, v4
	v_addc_co_u32_e64 v11, s[0:1], v7, v5, s[0:1]
	global_load_dwordx2 v[12:13], v[8:9], off
	global_load_dwordx2 v[14:15], v[10:11], off
	v_add_co_u32_e64 v1, s[0:1], s18, v1
	v_addc_co_u32_e64 v2, s[0:1], 0, v2, s[0:1]
	v_add_co_u32_e64 v4, s[0:1], s19, v4
	v_lshlrev_b64 v[10:11], 2, v[1:2]
	v_addc_co_u32_e64 v5, s[0:1], 0, v5, s[0:1]
	v_cmp_le_i64_e64 s[0:1], s[12:13], v[10:11]
	s_or_b64 s[16:17], s[0:1], s[16:17]
	s_waitcnt vmcnt(1)
	v_cvt_f32_f16_e32 v16, v12
	s_waitcnt vmcnt(0)
	v_cvt_f32_f16_e32 v17, v14
	v_cvt_f32_f16_sdwa v18, v12 dst_sel:DWORD dst_unused:UNUSED_PAD src0_sel:WORD_1
	v_cvt_f32_f16_sdwa v19, v14 dst_sel:DWORD dst_unused:UNUSED_PAD src0_sel:WORD_1
	v_cvt_f32_f16_e32 v20, v13
	v_cvt_f32_f16_e32 v21, v15
	v_cvt_f32_f16_sdwa v22, v13 dst_sel:DWORD dst_unused:UNUSED_PAD src0_sel:WORD_1
	v_cvt_f32_f16_sdwa v23, v15 dst_sel:DWORD dst_unused:UNUSED_PAD src0_sel:WORD_1
	v_sub_f32_e32 v16, v17, v16
	v_sub_f32_e32 v17, v19, v18
	;; [unrolled: 1-line block ×4, first 2 shown]
	v_fma_mix_f32 v20, s20, v16, v12 op_sel_hi:[0,0,1]
	v_fma_mix_f32 v16, -v3, v16, v14 op_sel_hi:[0,0,1]
	v_fma_mix_f32 v12, s20, v17, v12 op_sel:[0,0,1] op_sel_hi:[0,0,1]
	v_fma_mix_f32 v14, -v3, v17, v14 op_sel:[0,0,1] op_sel_hi:[0,0,1]
	v_fma_mix_f32 v17, s20, v18, v13 op_sel_hi:[0,0,1]
	v_fma_mix_f32 v18, -v3, v18, v15 op_sel_hi:[0,0,1]
	v_fma_mix_f32 v13, s20, v19, v13 op_sel:[0,0,1] op_sel_hi:[0,0,1]
	v_fma_mix_f32 v15, -v3, v19, v15 op_sel:[0,0,1] op_sel_hi:[0,0,1]
	v_cndmask_b32_e32 v16, v16, v20, vcc
	v_cndmask_b32_e32 v12, v14, v12, vcc
	;; [unrolled: 1-line block ×4, first 2 shown]
	v_cvt_f16_f32_e32 v15, v16
	v_cvt_f16_f32_e32 v12, v12
	;; [unrolled: 1-line block ×4, first 2 shown]
	v_pack_b32_f16 v10, v15, v12
	v_pack_b32_f16 v11, v14, v13
	global_store_dwordx2 v[8:9], v[10:11], off
	s_andn2_b64 exec, exec, s[16:17]
	s_cbranch_execnz .LBB34_3
.LBB34_4:
	s_or_b64 exec, exec, s[14:15]
	s_mov_b64 s[0:1], 0
.LBB34_5:
	s_andn2_b64 vcc, exec, s[0:1]
	s_cbranch_vccnz .LBB34_25
; %bb.6:
	v_cmp_lt_i64_e64 s[0:1], s[8:9], 1
	s_and_b64 vcc, exec, s[0:1]
	s_cbranch_vccnz .LBB34_25
; %bb.7:
	v_mov_b32_e32 v1, 0x10000
	s_load_dword s4, s[4:5], 0xd54
	v_mov_b32_e32 v2, 0
	v_cmp_lt_i64_e32 vcc, s[8:9], v[1:2]
	v_mov_b32_e32 v10, 0
	s_and_b64 s[0:1], vcc, exec
	v_cmp_lt_u64_e32 vcc, s[8:9], v[1:2]
	s_cselect_b32 s13, s9, 0
	s_cselect_b32 s12, s8, 0x10000
	s_waitcnt lgkmcnt(0)
	s_and_b32 s16, s4, 0xffff
	v_lshlrev_b32_e32 v9, 1, v0
	s_and_b64 s[0:1], vcc, exec
	v_mov_b32_e32 v2, s7
	v_add_co_u32_e32 v1, vcc, s6, v9
	v_mad_u64_u32 v[7:8], s[4:5], s16, 6, v[9:10]
	v_addc_co_u32_e32 v2, vcc, 0, v2, vcc
	v_mov_b32_e32 v4, s3
	v_add_co_u32_e32 v3, vcc, s2, v9
	v_addc_co_u32_e32 v4, vcc, 0, v4, vcc
	v_mov_b32_e32 v6, s7
	v_add_co_u32_e32 v5, vcc, s6, v7
	;; [unrolled: 3-line block ×3, first 2 shown]
	s_cselect_b32 s15, s9, 0
	s_cselect_b32 s14, s8, 0x10000
	s_lshl_b32 s21, s16, 2
	v_addc_co_u32_e32 v8, vcc, v10, v8, vcc
	v_add_co_u32_e32 v11, vcc, s21, v9
	v_addc_co_u32_e64 v12, s[4:5], 0, 0, vcc
	v_mov_b32_e32 v10, s7
	v_add_co_u32_e32 v9, vcc, s6, v11
	v_addc_co_u32_e32 v10, vcc, v10, v12, vcc
	v_mov_b32_e32 v13, s3
	v_add_co_u32_e32 v11, vcc, s2, v11
	v_addc_co_u32_e32 v12, vcc, v13, v12, vcc
	v_add_co_u32_e32 v13, vcc, s16, v0
	v_lshlrev_b32_e32 v17, 1, v13
	v_addc_co_u32_e64 v14, s[4:5], 0, 0, vcc
	v_mov_b32_e32 v16, s7
	v_add_co_u32_e32 v15, vcc, s6, v17
	v_addc_co_u32_e32 v16, vcc, 0, v16, vcc
	v_mov_b32_e32 v18, s3
	v_add_co_u32_e32 v17, vcc, s2, v17
	s_mul_i32 s9, s16, 3
	v_addc_co_u32_e32 v18, vcc, 0, v18, vcc
	s_lshl_b32 s8, s16, 1
	v_add_co_u32_e32 v20, vcc, s9, v0
	v_addc_co_u32_e64 v21, s[2:3], 0, 0, vcc
	v_add_co_u32_e32 v22, vcc, s8, v0
	v_cmp_lt_f32_e64 s[0:1], |s20|, 0.5
	s_lshl_b32 s22, s16, 3
	s_mov_b64 s[16:17], 0
	v_sub_f32_e64 v19, 1.0, s20
	v_addc_co_u32_e64 v23, s[2:3], 0, 0, vcc
	s_branch .LBB34_9
.LBB34_8:                               ;   in Loop: Header=BB34_9 Depth=1
	s_or_b64 exec, exec, s[2:3]
	v_add_co_u32_e32 v1, vcc, s22, v1
	v_addc_co_u32_e32 v2, vcc, 0, v2, vcc
	v_add_co_u32_e32 v3, vcc, s22, v3
	v_addc_co_u32_e32 v4, vcc, 0, v4, vcc
	;; [unrolled: 2-line block ×6, first 2 shown]
	s_add_u32 s16, s16, s21
	v_add_co_u32_e32 v15, vcc, s22, v15
	v_mov_b32_e32 v25, s13
	s_addc_u32 s17, s17, 0
	v_addc_co_u32_e32 v16, vcc, 0, v16, vcc
	v_mov_b32_e32 v24, s12
	v_cmp_ge_i64_e32 vcc, s[16:17], v[24:25]
	v_add_co_u32_e64 v17, s[2:3], s22, v17
	v_addc_co_u32_e64 v18, s[2:3], 0, v18, s[2:3]
	s_cbranch_vccnz .LBB34_25
.LBB34_9:                               ; =>This Inner Loop Header: Depth=1
	v_mov_b32_e32 v25, s17
	v_add_co_u32_e32 v24, vcc, s16, v0
	v_addc_co_u32_e32 v25, vcc, 0, v25, vcc
	v_cmp_gt_u64_e32 vcc, s[14:15], v[24:25]
	v_mov_b32_e32 v26, 0
	v_mov_b32_e32 v24, 0
	s_and_saveexec_b64 s[4:5], vcc
	s_cbranch_execz .LBB34_11
; %bb.10:                               ;   in Loop: Header=BB34_9 Depth=1
	v_mov_b32_e32 v27, s11
	v_add_co_u32_e64 v24, s[2:3], s10, v3
	v_addc_co_u32_e64 v25, s[2:3], v4, v27, s[2:3]
	v_add_co_u32_e64 v26, s[2:3], s10, v1
	v_addc_co_u32_e64 v27, s[2:3], v2, v27, s[2:3]
	global_load_ushort v28, v[26:27], off
	global_load_ushort v29, v[24:25], off
	s_waitcnt vmcnt(1)
	v_cvt_f32_f16_e32 v24, v28
	s_waitcnt vmcnt(0)
	v_cvt_f32_f16_e32 v26, v29
.LBB34_11:                              ;   in Loop: Header=BB34_9 Depth=1
	s_or_b64 exec, exec, s[4:5]
	v_mov_b32_e32 v25, s17
	v_add_co_u32_e64 v27, s[2:3], s16, v13
	v_addc_co_u32_e64 v28, s[2:3], v14, v25, s[2:3]
	v_cmp_gt_u64_e64 s[2:3], s[14:15], v[27:28]
	v_mov_b32_e32 v25, 0
	v_mov_b32_e32 v28, 0
	;; [unrolled: 1-line block ×3, first 2 shown]
	s_and_saveexec_b64 s[6:7], s[2:3]
	s_cbranch_execz .LBB34_13
; %bb.12:                               ;   in Loop: Header=BB34_9 Depth=1
	v_mov_b32_e32 v30, s11
	v_add_co_u32_e64 v27, s[4:5], s10, v17
	v_addc_co_u32_e64 v28, s[4:5], v18, v30, s[4:5]
	v_add_co_u32_e64 v29, s[4:5], s10, v15
	v_addc_co_u32_e64 v30, s[4:5], v16, v30, s[4:5]
	global_load_ushort v31, v[29:30], off
	global_load_ushort v32, v[27:28], off
	s_waitcnt vmcnt(1)
	v_cvt_f32_f16_e32 v27, v31
	s_waitcnt vmcnt(0)
	v_cvt_f32_f16_e32 v28, v32
.LBB34_13:                              ;   in Loop: Header=BB34_9 Depth=1
	s_or_b64 exec, exec, s[6:7]
	v_mov_b32_e32 v30, s17
	v_add_co_u32_e64 v29, s[4:5], s16, v22
	v_addc_co_u32_e64 v30, s[4:5], v23, v30, s[4:5]
	v_cmp_gt_u64_e64 s[4:5], s[14:15], v[29:30]
	v_mov_b32_e32 v29, 0
	s_and_saveexec_b64 s[8:9], s[4:5]
	s_cbranch_execz .LBB34_15
; %bb.14:                               ;   in Loop: Header=BB34_9 Depth=1
	v_mov_b32_e32 v25, s11
	v_add_co_u32_e64 v29, s[6:7], s10, v11
	v_addc_co_u32_e64 v30, s[6:7], v12, v25, s[6:7]
	v_add_co_u32_e64 v31, s[6:7], s10, v9
	v_addc_co_u32_e64 v32, s[6:7], v10, v25, s[6:7]
	global_load_ushort v25, v[31:32], off
	global_load_ushort v33, v[29:30], off
	s_waitcnt vmcnt(1)
	v_cvt_f32_f16_e32 v29, v25
	s_waitcnt vmcnt(0)
	v_cvt_f32_f16_e32 v25, v33
.LBB34_15:                              ;   in Loop: Header=BB34_9 Depth=1
	s_or_b64 exec, exec, s[8:9]
	v_mov_b32_e32 v31, s17
	v_add_co_u32_e64 v30, s[6:7], s16, v20
	v_addc_co_u32_e64 v31, s[6:7], v21, v31, s[6:7]
	v_cmp_gt_u64_e64 s[6:7], s[14:15], v[30:31]
	v_mov_b32_e32 v30, 0
	v_mov_b32_e32 v31, 0
	s_and_saveexec_b64 s[18:19], s[6:7]
	s_cbranch_execnz .LBB34_20
; %bb.16:                               ;   in Loop: Header=BB34_9 Depth=1
	s_or_b64 exec, exec, s[18:19]
	s_and_saveexec_b64 s[8:9], vcc
	s_cbranch_execnz .LBB34_21
.LBB34_17:                              ;   in Loop: Header=BB34_9 Depth=1
	s_or_b64 exec, exec, s[8:9]
	s_and_saveexec_b64 s[8:9], s[2:3]
	s_cbranch_execnz .LBB34_22
.LBB34_18:                              ;   in Loop: Header=BB34_9 Depth=1
	s_or_b64 exec, exec, s[8:9]
	s_and_saveexec_b64 s[2:3], s[4:5]
	s_cbranch_execnz .LBB34_23
.LBB34_19:                              ;   in Loop: Header=BB34_9 Depth=1
	s_or_b64 exec, exec, s[2:3]
	s_and_saveexec_b64 s[2:3], s[6:7]
	s_cbranch_execz .LBB34_8
	s_branch .LBB34_24
.LBB34_20:                              ;   in Loop: Header=BB34_9 Depth=1
	v_mov_b32_e32 v33, s11
	v_add_co_u32_e64 v30, s[8:9], s10, v7
	v_addc_co_u32_e64 v31, s[8:9], v8, v33, s[8:9]
	v_add_co_u32_e64 v32, s[8:9], s10, v5
	v_addc_co_u32_e64 v33, s[8:9], v6, v33, s[8:9]
	global_load_ushort v34, v[32:33], off
	global_load_ushort v35, v[30:31], off
	s_waitcnt vmcnt(1)
	v_cvt_f32_f16_e32 v31, v34
	s_waitcnt vmcnt(0)
	v_cvt_f32_f16_e32 v30, v35
	s_or_b64 exec, exec, s[18:19]
	s_and_saveexec_b64 s[8:9], vcc
	s_cbranch_execz .LBB34_17
.LBB34_21:                              ;   in Loop: Header=BB34_9 Depth=1
	v_sub_f32_e32 v32, v26, v24
	v_fmac_f32_e32 v24, s20, v32
	v_fma_f32 v26, -v19, v32, v26
	v_cndmask_b32_e64 v24, v26, v24, s[0:1]
	v_cvt_f16_f32_e32 v24, v24
	v_mov_b32_e32 v33, s11
	v_add_co_u32_e32 v32, vcc, s10, v1
	v_addc_co_u32_e32 v33, vcc, v2, v33, vcc
	global_store_short v[32:33], v24, off
	s_or_b64 exec, exec, s[8:9]
	s_and_saveexec_b64 s[8:9], s[2:3]
	s_cbranch_execz .LBB34_18
.LBB34_22:                              ;   in Loop: Header=BB34_9 Depth=1
	v_sub_f32_e32 v24, v28, v27
	v_fmac_f32_e32 v27, s20, v24
	v_fma_f32 v24, -v19, v24, v28
	v_cndmask_b32_e64 v24, v24, v27, s[0:1]
	v_cvt_f16_f32_e32 v24, v24
	v_mov_b32_e32 v27, s11
	v_add_co_u32_e32 v26, vcc, s10, v15
	v_addc_co_u32_e32 v27, vcc, v16, v27, vcc
	global_store_short v[26:27], v24, off
	s_or_b64 exec, exec, s[8:9]
	s_and_saveexec_b64 s[2:3], s[4:5]
	s_cbranch_execz .LBB34_19
.LBB34_23:                              ;   in Loop: Header=BB34_9 Depth=1
	v_sub_f32_e32 v24, v25, v29
	v_fmac_f32_e32 v29, s20, v24
	v_fma_f32 v24, -v19, v24, v25
	v_cndmask_b32_e64 v24, v24, v29, s[0:1]
	v_cvt_f16_f32_e32 v26, v24
	v_mov_b32_e32 v25, s11
	v_add_co_u32_e32 v24, vcc, s10, v9
	v_addc_co_u32_e32 v25, vcc, v10, v25, vcc
	global_store_short v[24:25], v26, off
	s_or_b64 exec, exec, s[2:3]
	s_and_saveexec_b64 s[2:3], s[6:7]
	s_cbranch_execz .LBB34_8
.LBB34_24:                              ;   in Loop: Header=BB34_9 Depth=1
	v_sub_f32_e32 v24, v30, v31
	v_fmac_f32_e32 v31, s20, v24
	v_fma_f32 v24, -v19, v24, v30
	v_cndmask_b32_e64 v24, v24, v31, s[0:1]
	v_cvt_f16_f32_e32 v26, v24
	v_mov_b32_e32 v25, s11
	v_add_co_u32_e32 v24, vcc, s10, v5
	v_addc_co_u32_e32 v25, vcc, v6, v25, vcc
	global_store_short v[24:25], v26, off
	s_branch .LBB34_8
.LBB34_25:
	s_endpgm
	.section	.rodata,"a",@progbits
	.p2align	6, 0x0
	.amdhsa_kernel _ZN2at6native12_GLOBAL__N_125multi_tensor_apply_kernelINS1_28TensorListScalarListMetadataIfLi2EEENS1_26TernaryOpScalarListFunctorIN3c104HalfELi2ELi2ELi0EEEJNS0_11LerpFunctorIfEEEEEvT_T0_DpT1_
		.amdhsa_group_segment_fixed_size 0
		.amdhsa_private_segment_fixed_size 0
		.amdhsa_kernarg_size 3656
		.amdhsa_user_sgpr_count 6
		.amdhsa_user_sgpr_private_segment_buffer 1
		.amdhsa_user_sgpr_dispatch_ptr 0
		.amdhsa_user_sgpr_queue_ptr 0
		.amdhsa_user_sgpr_kernarg_segment_ptr 1
		.amdhsa_user_sgpr_dispatch_id 0
		.amdhsa_user_sgpr_flat_scratch_init 0
		.amdhsa_user_sgpr_private_segment_size 0
		.amdhsa_uses_dynamic_stack 0
		.amdhsa_system_sgpr_private_segment_wavefront_offset 0
		.amdhsa_system_sgpr_workgroup_id_x 1
		.amdhsa_system_sgpr_workgroup_id_y 0
		.amdhsa_system_sgpr_workgroup_id_z 0
		.amdhsa_system_sgpr_workgroup_info 0
		.amdhsa_system_vgpr_workitem_id 0
		.amdhsa_next_free_vgpr 36
		.amdhsa_next_free_sgpr 23
		.amdhsa_reserve_vcc 1
		.amdhsa_reserve_flat_scratch 0
		.amdhsa_float_round_mode_32 0
		.amdhsa_float_round_mode_16_64 0
		.amdhsa_float_denorm_mode_32 3
		.amdhsa_float_denorm_mode_16_64 3
		.amdhsa_dx10_clamp 1
		.amdhsa_ieee_mode 1
		.amdhsa_fp16_overflow 0
		.amdhsa_exception_fp_ieee_invalid_op 0
		.amdhsa_exception_fp_denorm_src 0
		.amdhsa_exception_fp_ieee_div_zero 0
		.amdhsa_exception_fp_ieee_overflow 0
		.amdhsa_exception_fp_ieee_underflow 0
		.amdhsa_exception_fp_ieee_inexact 0
		.amdhsa_exception_int_div_zero 0
	.end_amdhsa_kernel
	.section	.text._ZN2at6native12_GLOBAL__N_125multi_tensor_apply_kernelINS1_28TensorListScalarListMetadataIfLi2EEENS1_26TernaryOpScalarListFunctorIN3c104HalfELi2ELi2ELi0EEEJNS0_11LerpFunctorIfEEEEEvT_T0_DpT1_,"axG",@progbits,_ZN2at6native12_GLOBAL__N_125multi_tensor_apply_kernelINS1_28TensorListScalarListMetadataIfLi2EEENS1_26TernaryOpScalarListFunctorIN3c104HalfELi2ELi2ELi0EEEJNS0_11LerpFunctorIfEEEEEvT_T0_DpT1_,comdat
.Lfunc_end34:
	.size	_ZN2at6native12_GLOBAL__N_125multi_tensor_apply_kernelINS1_28TensorListScalarListMetadataIfLi2EEENS1_26TernaryOpScalarListFunctorIN3c104HalfELi2ELi2ELi0EEEJNS0_11LerpFunctorIfEEEEEvT_T0_DpT1_, .Lfunc_end34-_ZN2at6native12_GLOBAL__N_125multi_tensor_apply_kernelINS1_28TensorListScalarListMetadataIfLi2EEENS1_26TernaryOpScalarListFunctorIN3c104HalfELi2ELi2ELi0EEEJNS0_11LerpFunctorIfEEEEEvT_T0_DpT1_
                                        ; -- End function
	.set _ZN2at6native12_GLOBAL__N_125multi_tensor_apply_kernelINS1_28TensorListScalarListMetadataIfLi2EEENS1_26TernaryOpScalarListFunctorIN3c104HalfELi2ELi2ELi0EEEJNS0_11LerpFunctorIfEEEEEvT_T0_DpT1_.num_vgpr, 36
	.set _ZN2at6native12_GLOBAL__N_125multi_tensor_apply_kernelINS1_28TensorListScalarListMetadataIfLi2EEENS1_26TernaryOpScalarListFunctorIN3c104HalfELi2ELi2ELi0EEEJNS0_11LerpFunctorIfEEEEEvT_T0_DpT1_.num_agpr, 0
	.set _ZN2at6native12_GLOBAL__N_125multi_tensor_apply_kernelINS1_28TensorListScalarListMetadataIfLi2EEENS1_26TernaryOpScalarListFunctorIN3c104HalfELi2ELi2ELi0EEEJNS0_11LerpFunctorIfEEEEEvT_T0_DpT1_.numbered_sgpr, 23
	.set _ZN2at6native12_GLOBAL__N_125multi_tensor_apply_kernelINS1_28TensorListScalarListMetadataIfLi2EEENS1_26TernaryOpScalarListFunctorIN3c104HalfELi2ELi2ELi0EEEJNS0_11LerpFunctorIfEEEEEvT_T0_DpT1_.num_named_barrier, 0
	.set _ZN2at6native12_GLOBAL__N_125multi_tensor_apply_kernelINS1_28TensorListScalarListMetadataIfLi2EEENS1_26TernaryOpScalarListFunctorIN3c104HalfELi2ELi2ELi0EEEJNS0_11LerpFunctorIfEEEEEvT_T0_DpT1_.private_seg_size, 0
	.set _ZN2at6native12_GLOBAL__N_125multi_tensor_apply_kernelINS1_28TensorListScalarListMetadataIfLi2EEENS1_26TernaryOpScalarListFunctorIN3c104HalfELi2ELi2ELi0EEEJNS0_11LerpFunctorIfEEEEEvT_T0_DpT1_.uses_vcc, 1
	.set _ZN2at6native12_GLOBAL__N_125multi_tensor_apply_kernelINS1_28TensorListScalarListMetadataIfLi2EEENS1_26TernaryOpScalarListFunctorIN3c104HalfELi2ELi2ELi0EEEJNS0_11LerpFunctorIfEEEEEvT_T0_DpT1_.uses_flat_scratch, 0
	.set _ZN2at6native12_GLOBAL__N_125multi_tensor_apply_kernelINS1_28TensorListScalarListMetadataIfLi2EEENS1_26TernaryOpScalarListFunctorIN3c104HalfELi2ELi2ELi0EEEJNS0_11LerpFunctorIfEEEEEvT_T0_DpT1_.has_dyn_sized_stack, 0
	.set _ZN2at6native12_GLOBAL__N_125multi_tensor_apply_kernelINS1_28TensorListScalarListMetadataIfLi2EEENS1_26TernaryOpScalarListFunctorIN3c104HalfELi2ELi2ELi0EEEJNS0_11LerpFunctorIfEEEEEvT_T0_DpT1_.has_recursion, 0
	.set _ZN2at6native12_GLOBAL__N_125multi_tensor_apply_kernelINS1_28TensorListScalarListMetadataIfLi2EEENS1_26TernaryOpScalarListFunctorIN3c104HalfELi2ELi2ELi0EEEJNS0_11LerpFunctorIfEEEEEvT_T0_DpT1_.has_indirect_call, 0
	.section	.AMDGPU.csdata,"",@progbits
; Kernel info:
; codeLenInByte = 1804
; TotalNumSgprs: 27
; NumVgprs: 36
; ScratchSize: 0
; MemoryBound: 0
; FloatMode: 240
; IeeeMode: 1
; LDSByteSize: 0 bytes/workgroup (compile time only)
; SGPRBlocks: 3
; VGPRBlocks: 8
; NumSGPRsForWavesPerEU: 27
; NumVGPRsForWavesPerEU: 36
; Occupancy: 7
; WaveLimiterHint : 0
; COMPUTE_PGM_RSRC2:SCRATCH_EN: 0
; COMPUTE_PGM_RSRC2:USER_SGPR: 6
; COMPUTE_PGM_RSRC2:TRAP_HANDLER: 0
; COMPUTE_PGM_RSRC2:TGID_X_EN: 1
; COMPUTE_PGM_RSRC2:TGID_Y_EN: 0
; COMPUTE_PGM_RSRC2:TGID_Z_EN: 0
; COMPUTE_PGM_RSRC2:TIDIG_COMP_CNT: 0
	.section	.text._ZN2at6native12_GLOBAL__N_125multi_tensor_apply_kernelINS1_28TensorListScalarListMetadataIfLi2EEENS1_26TernaryOpScalarListFunctorIN3c108BFloat16ELi2ELi2ELi0EEEJNS0_11LerpFunctorIfEEEEEvT_T0_DpT1_,"axG",@progbits,_ZN2at6native12_GLOBAL__N_125multi_tensor_apply_kernelINS1_28TensorListScalarListMetadataIfLi2EEENS1_26TernaryOpScalarListFunctorIN3c108BFloat16ELi2ELi2ELi0EEEJNS0_11LerpFunctorIfEEEEEvT_T0_DpT1_,comdat
	.globl	_ZN2at6native12_GLOBAL__N_125multi_tensor_apply_kernelINS1_28TensorListScalarListMetadataIfLi2EEENS1_26TernaryOpScalarListFunctorIN3c108BFloat16ELi2ELi2ELi0EEEJNS0_11LerpFunctorIfEEEEEvT_T0_DpT1_ ; -- Begin function _ZN2at6native12_GLOBAL__N_125multi_tensor_apply_kernelINS1_28TensorListScalarListMetadataIfLi2EEENS1_26TernaryOpScalarListFunctorIN3c108BFloat16ELi2ELi2ELi0EEEJNS0_11LerpFunctorIfEEEEEvT_T0_DpT1_
	.p2align	8
	.type	_ZN2at6native12_GLOBAL__N_125multi_tensor_apply_kernelINS1_28TensorListScalarListMetadataIfLi2EEENS1_26TernaryOpScalarListFunctorIN3c108BFloat16ELi2ELi2ELi0EEEJNS0_11LerpFunctorIfEEEEEvT_T0_DpT1_,@function
_ZN2at6native12_GLOBAL__N_125multi_tensor_apply_kernelINS1_28TensorListScalarListMetadataIfLi2EEENS1_26TernaryOpScalarListFunctorIN3c108BFloat16ELi2ELi2ELi0EEEJNS0_11LerpFunctorIfEEEEEvT_T0_DpT1_: ; @_ZN2at6native12_GLOBAL__N_125multi_tensor_apply_kernelINS1_28TensorListScalarListMetadataIfLi2EEENS1_26TernaryOpScalarListFunctorIN3c108BFloat16ELi2ELi2ELi0EEEJNS0_11LerpFunctorIfEEEEEvT_T0_DpT1_
; %bb.0:
	v_mov_b32_e32 v1, s6
	global_load_ubyte v1, v1, s[4:5] offset:1792
	s_add_u32 s0, s4, s6
	s_mul_hi_u32 s2, s6, 3
	s_mul_i32 s6, s6, 3
	s_addc_u32 s7, s5, 0
	s_add_u32 s6, s0, s6
	s_addc_u32 s7, s7, s2
	s_load_dword s6, s[6:7], 0x840
	s_mov_b32 s1, 0
	s_mov_b32 s3, s1
	v_mov_b32_e32 v2, 0
	s_waitcnt lgkmcnt(0)
	s_ashr_i32 s7, s6, 31
	s_waitcnt vmcnt(0)
	v_readfirstlane_b32 s0, v1
	v_lshlrev_b32_e32 v1, 2, v1
	v_sub_co_u32_e32 v1, vcc, 0, v1
	s_lshl_b32 s0, s0, 3
	v_subb_co_u32_e64 v3, s[8:9], 0, 0, vcc
	s_load_dwordx2 s[12:13], s[4:5], s0 offset:0x400
	s_load_dwordx2 s[16:17], s[4:5], s0 offset:0x0
	;; [unrolled: 1-line block ×3, first 2 shown]
	s_add_u32 s0, s4, s0
	s_addc_u32 s2, s5, 0
	s_lshl_b64 s[10:11], s[6:7], 17
	v_mov_b32_e32 v4, s2
	v_add_co_u32_e32 v1, vcc, s0, v1
	v_addc_co_u32_e32 v3, vcc, v4, v3, vcc
	s_waitcnt lgkmcnt(0)
	s_add_u32 s0, s16, s10
	s_lshl_b64 s[6:7], s[6:7], 16
	v_readfirstlane_b32 s14, v1
	s_and_b32 s2, s8, 7
	v_readfirstlane_b32 s15, v3
	s_and_b32 s0, s0, 7
	s_load_dword s22, s[14:15], 0x600
	s_sub_u32 s14, s12, s6
	s_subb_u32 s15, s13, s7
	s_and_b32 s6, s12, 3
	s_mov_b32 s7, s1
	s_or_b64 s[2:3], s[2:3], s[6:7]
	s_or_b64 s[0:1], s[2:3], s[0:1]
	s_cmp_eq_u64 s[0:1], 0
	s_mov_b64 s[0:1], -1
	s_cbranch_scc0 .LBB35_5
; %bb.1:
	v_mov_b32_e32 v3, 0x10000
	v_mov_b32_e32 v4, 0
	v_cmp_lt_i64_e32 vcc, s[14:15], v[3:4]
	v_lshlrev_b32_e32 v1, 2, v0
	s_and_b64 s[0:1], vcc, exec
	s_cselect_b32 s13, s15, 0
	s_cselect_b32 s12, s14, 0x10000
	v_cmp_gt_i64_e32 vcc, s[12:13], v[1:2]
	s_and_saveexec_b64 s[18:19], vcc
	s_cbranch_execz .LBB35_4
; %bb.2:
	s_load_dword s0, s[4:5], 0xd54
	v_mov_b32_e32 v1, v2
	v_lshlrev_b32_e32 v2, 3, v0
	v_mov_b32_e32 v5, s11
	s_waitcnt lgkmcnt(0)
	v_cmp_lt_f32_e64 vcc, |s22|, 0.5
	s_and_b32 s23, s0, 0xffff
	v_add_co_u32_e64 v4, s[0:1], s10, v2
	v_mov_b32_e32 v2, v1
	v_sub_f32_e64 v3, 1.0, s22
	v_addc_co_u32_e64 v5, s[0:1], 0, v5, s[0:1]
	s_lshl_b32 s24, s23, 3
	s_mov_b64 s[20:21], 0
	v_mov_b32_e32 v6, s17
	v_mov_b32_e32 v7, s9
	s_movk_i32 s25, 0x7fff
	v_mov_b32_e32 v8, 0x7fc0
	v_mov_b32_e32 v9, 0x7fc00000
	;; [unrolled: 1-line block ×3, first 2 shown]
.LBB35_3:                               ; =>This Inner Loop Header: Depth=1
	v_add_co_u32_e64 v10, s[0:1], s16, v4
	v_addc_co_u32_e64 v11, s[0:1], v6, v5, s[0:1]
	v_add_co_u32_e64 v12, s[0:1], s8, v4
	v_addc_co_u32_e64 v13, s[0:1], v7, v5, s[0:1]
	global_load_dwordx2 v[14:15], v[10:11], off
	global_load_dwordx2 v[16:17], v[12:13], off
	v_add_co_u32_e64 v1, s[0:1], s23, v1
	v_addc_co_u32_e64 v2, s[0:1], 0, v2, s[0:1]
	v_add_co_u32_e64 v4, s[0:1], s24, v4
	v_lshlrev_b64 v[12:13], 2, v[1:2]
	v_addc_co_u32_e64 v5, s[0:1], 0, v5, s[0:1]
	v_cmp_le_i64_e64 s[0:1], s[12:13], v[12:13]
	s_or_b64 s[20:21], s[0:1], s[20:21]
	s_waitcnt vmcnt(1)
	v_lshlrev_b32_e32 v12, 16, v14
	s_waitcnt vmcnt(0)
	v_lshlrev_b32_e32 v13, 16, v16
	v_and_b32_e32 v18, 0xffff0000, v14
	v_and_b32_e32 v19, 0xffff0000, v16
	v_alignbit_b32 v14, v15, v14, 16
	v_alignbit_b32 v16, v17, v16, 16
	v_and_b32_e32 v15, 0xffff0000, v15
	v_and_b32_e32 v17, 0xffff0000, v17
	v_sub_f32_e32 v20, v13, v12
	v_sub_f32_e32 v21, v19, v18
	v_and_b32_e32 v14, 0xffff0000, v14
	v_and_b32_e32 v16, 0xffff0000, v16
	v_sub_f32_e32 v22, v17, v15
	v_fmac_f32_e32 v12, s22, v20
	v_fma_f32 v13, -v3, v20, v13
	v_fmac_f32_e32 v18, s22, v21
	v_fma_f32 v19, -v3, v21, v19
	v_sub_f32_e32 v20, v16, v14
	v_fmac_f32_e32 v15, s22, v22
	v_fma_f32 v17, -v3, v22, v17
	v_cndmask_b32_e32 v12, v13, v12, vcc
	v_cndmask_b32_e32 v13, v19, v18, vcc
	v_fmac_f32_e32 v14, s22, v20
	v_fma_f32 v16, -v3, v20, v16
	v_cndmask_b32_e32 v15, v17, v15, vcc
	v_bfe_u32 v17, v12, 16, 1
	v_bfe_u32 v18, v13, 16, 1
	v_cndmask_b32_e32 v14, v16, v14, vcc
	v_bfe_u32 v16, v15, 16, 1
	v_add3_u32 v17, v12, v17, s25
	v_add3_u32 v18, v13, v18, s25
	v_bfe_u32 v19, v14, 16, 1
	v_add3_u32 v16, v15, v16, s25
	v_lshrrev_b32_e32 v17, 16, v17
	v_and_b32_e32 v18, 0xffff0000, v18
	v_cmp_o_f32_e64 s[0:1], v13, v13
	v_add3_u32 v13, v14, v19, s25
	v_cmp_o_f32_e64 s[6:7], v12, v12
	v_and_b32_e32 v16, 0xffff0000, v16
	v_cmp_o_f32_e64 s[2:3], v15, v15
	v_cndmask_b32_e64 v12, v8, v17, s[6:7]
	v_cndmask_b32_e64 v15, v9, v18, s[0:1]
	v_lshrrev_b32_e32 v13, 16, v13
	v_cmp_o_f32_e64 s[0:1], v14, v14
	v_cndmask_b32_e64 v14, v9, v16, s[2:3]
	v_or_b32_e32 v12, v12, v15
	v_cndmask_b32_e64 v13, v8, v13, s[0:1]
	v_or3_b32 v13, 0, v13, v14
	v_or3_b32 v12, v12, 0, 0
	global_store_dwordx2 v[10:11], v[12:13], off
	s_andn2_b64 exec, exec, s[20:21]
	s_cbranch_execnz .LBB35_3
.LBB35_4:
	s_or_b64 exec, exec, s[18:19]
	s_mov_b64 s[0:1], 0
.LBB35_5:
	s_andn2_b64 vcc, exec, s[0:1]
	s_cbranch_vccnz .LBB35_25
; %bb.6:
	v_cmp_lt_i64_e64 s[0:1], s[14:15], 1
	s_and_b64 vcc, exec, s[0:1]
	s_cbranch_vccnz .LBB35_25
; %bb.7:
	v_mov_b32_e32 v1, 0x10000
	s_load_dword s2, s[4:5], 0xd54
	v_mov_b32_e32 v2, 0
	v_cmp_lt_i64_e32 vcc, s[14:15], v[1:2]
	v_mov_b32_e32 v3, 0
	s_and_b64 s[0:1], vcc, exec
	v_cmp_lt_u64_e32 vcc, s[14:15], v[1:2]
	s_cselect_b32 s13, s15, 0
	s_cselect_b32 s12, s14, 0x10000
	s_waitcnt lgkmcnt(0)
	s_and_b32 s4, s2, 0xffff
	v_lshlrev_b32_e32 v2, 1, v0
	s_and_b64 s[0:1], vcc, exec
	v_mov_b32_e32 v1, s17
	v_add_co_u32_e32 v5, vcc, s16, v2
	v_mad_u64_u32 v[3:4], s[2:3], s4, 6, v[2:3]
	v_addc_co_u32_e32 v6, vcc, 0, v1, vcc
	v_mov_b32_e32 v1, s9
	v_add_co_u32_e32 v7, vcc, s8, v2
	v_addc_co_u32_e32 v8, vcc, 0, v1, vcc
	v_mov_b32_e32 v1, s17
	v_add_co_u32_e32 v9, vcc, s16, v3
	;; [unrolled: 3-line block ×3, first 2 shown]
	s_cselect_b32 s15, s15, 0
	s_cselect_b32 s14, s14, 0x10000
	s_lshl_b32 s21, s4, 2
	v_addc_co_u32_e32 v12, vcc, v1, v4, vcc
	v_add_co_u32_e32 v1, vcc, s21, v2
	v_addc_co_u32_e64 v2, s[2:3], 0, 0, vcc
	v_mov_b32_e32 v3, s17
	v_add_co_u32_e32 v13, vcc, s16, v1
	v_addc_co_u32_e32 v14, vcc, v3, v2, vcc
	v_mov_b32_e32 v3, s9
	v_add_co_u32_e32 v15, vcc, s8, v1
	v_addc_co_u32_e32 v16, vcc, v3, v2, vcc
	v_add_co_u32_e32 v17, vcc, s4, v0
	v_lshlrev_b32_e32 v1, 1, v17
	v_addc_co_u32_e64 v18, s[2:3], 0, 0, vcc
	v_mov_b32_e32 v2, s17
	v_add_co_u32_e32 v19, vcc, s16, v1
	v_addc_co_u32_e32 v20, vcc, 0, v2, vcc
	v_mov_b32_e32 v2, s9
	v_add_co_u32_e32 v21, vcc, s8, v1
	s_mul_i32 s6, s4, 3
	v_addc_co_u32_e32 v22, vcc, 0, v2, vcc
	s_lshl_b32 s5, s4, 1
	v_add_co_u32_e32 v24, vcc, s6, v0
	v_addc_co_u32_e64 v25, s[2:3], 0, 0, vcc
	v_add_co_u32_e32 v26, vcc, s5, v0
	s_mov_b32 s20, 0
	v_cmp_lt_f32_e64 s[0:1], |s22|, 0.5
	s_lshl_b32 s23, s4, 3
	s_mov_b64 s[16:17], 0
	s_movk_i32 s24, 0x7fff
	v_sub_f32_e64 v23, 1.0, s22
	v_addc_co_u32_e64 v27, s[2:3], 0, 0, vcc
	v_mov_b32_e32 v28, 0x7fc0
	s_branch .LBB35_9
.LBB35_8:                               ;   in Loop: Header=BB35_9 Depth=1
	s_or_b64 exec, exec, s[2:3]
	v_add_co_u32_e32 v5, vcc, s23, v5
	v_addc_co_u32_e32 v6, vcc, 0, v6, vcc
	v_add_co_u32_e32 v7, vcc, s23, v7
	v_addc_co_u32_e32 v8, vcc, 0, v8, vcc
	;; [unrolled: 2-line block ×6, first 2 shown]
	s_add_u32 s16, s16, s21
	v_add_co_u32_e32 v19, vcc, s23, v19
	v_mov_b32_e32 v1, s12
	s_addc_u32 s17, s17, 0
	v_addc_co_u32_e32 v20, vcc, 0, v20, vcc
	v_mov_b32_e32 v2, s13
	v_cmp_ge_i64_e32 vcc, s[16:17], v[1:2]
	v_add_co_u32_e64 v21, s[2:3], s23, v21
	v_addc_co_u32_e64 v22, s[2:3], 0, v22, s[2:3]
	s_cbranch_vccnz .LBB35_25
.LBB35_9:                               ; =>This Inner Loop Header: Depth=1
	v_mov_b32_e32 v2, s17
	v_add_co_u32_e32 v1, vcc, s16, v0
	v_addc_co_u32_e32 v2, vcc, 0, v2, vcc
	v_cmp_gt_u64_e32 vcc, s[14:15], v[1:2]
	v_mov_b32_e32 v1, 0
	v_mov_b32_e32 v3, 0
	;; [unrolled: 1-line block ×4, first 2 shown]
	s_and_saveexec_b64 s[4:5], vcc
	s_cbranch_execz .LBB35_11
; %bb.10:                               ;   in Loop: Header=BB35_9 Depth=1
	v_mov_b32_e32 v4, s11
	v_add_co_u32_e64 v1, s[2:3], s10, v7
	v_addc_co_u32_e64 v2, s[2:3], v8, v4, s[2:3]
	v_add_co_u32_e64 v3, s[2:3], s10, v5
	v_addc_co_u32_e64 v4, s[2:3], v6, v4, s[2:3]
	global_load_ushort v29, v[3:4], off
	global_load_ushort v30, v[1:2], off
	v_mov_b32_e32 v4, s20
	v_mov_b32_e32 v2, s20
	s_waitcnt vmcnt(1)
	v_and_b32_e32 v3, 0xffff, v29
	s_waitcnt vmcnt(0)
	v_and_b32_e32 v1, 0xffff, v30
.LBB35_11:                              ;   in Loop: Header=BB35_9 Depth=1
	s_or_b64 exec, exec, s[4:5]
	v_mov_b32_e32 v30, s17
	v_add_co_u32_e64 v29, s[2:3], s16, v17
	v_addc_co_u32_e64 v30, s[2:3], v18, v30, s[2:3]
	v_cmp_gt_u64_e64 s[2:3], s[14:15], v[29:30]
	s_and_saveexec_b64 s[6:7], s[2:3]
	s_cbranch_execz .LBB35_13
; %bb.12:                               ;   in Loop: Header=BB35_9 Depth=1
	v_mov_b32_e32 v31, s11
	v_add_co_u32_e64 v29, s[4:5], s10, v19
	v_addc_co_u32_e64 v30, s[4:5], v20, v31, s[4:5]
	global_load_ushort v32, v[29:30], off
	v_add_co_u32_e64 v29, s[4:5], s10, v21
	v_addc_co_u32_e64 v30, s[4:5], v22, v31, s[4:5]
	global_load_ushort v29, v[29:30], off
	s_waitcnt vmcnt(1)
	v_lshl_or_b32 v3, v32, 16, v3
	s_waitcnt vmcnt(0)
	v_lshl_or_b32 v1, v29, 16, v1
.LBB35_13:                              ;   in Loop: Header=BB35_9 Depth=1
	s_or_b64 exec, exec, s[6:7]
	v_mov_b32_e32 v30, s17
	v_add_co_u32_e64 v29, s[4:5], s16, v26
	v_addc_co_u32_e64 v30, s[4:5], v27, v30, s[4:5]
	v_cmp_gt_u64_e64 s[4:5], s[14:15], v[29:30]
	v_cmp_le_u64_e64 s[6:7], s[14:15], v[29:30]
	s_and_saveexec_b64 s[8:9], s[6:7]
	s_xor_b64 s[6:7], exec, s[8:9]
	s_andn2_saveexec_b64 s[8:9], s[6:7]
	s_cbranch_execz .LBB35_15
; %bb.14:                               ;   in Loop: Header=BB35_9 Depth=1
	v_mov_b32_e32 v31, s11
	v_add_co_u32_e64 v29, s[6:7], s10, v13
	v_addc_co_u32_e64 v30, s[6:7], v14, v31, s[6:7]
	global_load_ushort v32, v[29:30], off
	v_add_co_u32_e64 v29, s[6:7], s10, v15
	v_addc_co_u32_e64 v30, s[6:7], v16, v31, s[6:7]
	global_load_ushort v29, v[29:30], off
	s_waitcnt vmcnt(1)
	v_or_b32_e32 v4, v32, v4
	s_waitcnt vmcnt(0)
	v_or_b32_e32 v2, v29, v2
.LBB35_15:                              ;   in Loop: Header=BB35_9 Depth=1
	s_or_b64 exec, exec, s[8:9]
	v_mov_b32_e32 v30, s17
	v_add_co_u32_e64 v29, s[6:7], s16, v24
	v_addc_co_u32_e64 v30, s[6:7], v25, v30, s[6:7]
	v_cmp_gt_u64_e64 s[6:7], s[14:15], v[29:30]
	s_and_saveexec_b64 s[18:19], s[6:7]
	s_cbranch_execnz .LBB35_20
; %bb.16:                               ;   in Loop: Header=BB35_9 Depth=1
	s_or_b64 exec, exec, s[18:19]
	s_and_saveexec_b64 s[8:9], vcc
	s_cbranch_execnz .LBB35_21
.LBB35_17:                              ;   in Loop: Header=BB35_9 Depth=1
	s_or_b64 exec, exec, s[8:9]
	s_and_saveexec_b64 s[8:9], s[2:3]
	s_cbranch_execnz .LBB35_22
.LBB35_18:                              ;   in Loop: Header=BB35_9 Depth=1
	s_or_b64 exec, exec, s[8:9]
	s_and_saveexec_b64 s[2:3], s[4:5]
	s_cbranch_execnz .LBB35_23
.LBB35_19:                              ;   in Loop: Header=BB35_9 Depth=1
	s_or_b64 exec, exec, s[2:3]
	s_and_saveexec_b64 s[2:3], s[6:7]
	s_cbranch_execz .LBB35_8
	s_branch .LBB35_24
.LBB35_20:                              ;   in Loop: Header=BB35_9 Depth=1
	v_mov_b32_e32 v31, s11
	v_add_co_u32_e64 v29, s[8:9], s10, v9
	v_addc_co_u32_e64 v30, s[8:9], v10, v31, s[8:9]
	global_load_ushort v32, v[29:30], off
	v_add_co_u32_e64 v29, s[8:9], s10, v11
	v_addc_co_u32_e64 v30, s[8:9], v12, v31, s[8:9]
	global_load_ushort v29, v[29:30], off
	v_add_co_u32_e64 v1, s[8:9], 0, v1
	s_waitcnt vmcnt(1)
	v_lshlrev_b32_e32 v30, 16, v32
	v_or_b32_e32 v4, v30, v4
	s_waitcnt vmcnt(0)
	v_lshlrev_b32_e32 v29, 16, v29
	v_addc_co_u32_e64 v2, s[8:9], v29, v2, s[8:9]
	s_or_b64 exec, exec, s[18:19]
	s_and_saveexec_b64 s[8:9], vcc
	s_cbranch_execz .LBB35_17
.LBB35_21:                              ;   in Loop: Header=BB35_9 Depth=1
	v_lshlrev_b32_e32 v29, 16, v1
	v_lshlrev_b32_e32 v30, 16, v3
	v_sub_f32_e32 v31, v29, v30
	v_fmac_f32_e32 v30, s22, v31
	v_fma_f32 v29, -v23, v31, v29
	v_cndmask_b32_e64 v31, v29, v30, s[0:1]
	v_bfe_u32 v29, v31, 16, 1
	v_add3_u32 v32, v31, v29, s24
	v_mov_b32_e32 v30, s11
	v_add_co_u32_e32 v29, vcc, s10, v5
	v_addc_co_u32_e32 v30, vcc, v6, v30, vcc
	v_cmp_o_f32_e32 vcc, v31, v31
	v_cndmask_b32_sdwa v31, v28, v32, vcc dst_sel:DWORD dst_unused:UNUSED_PAD src0_sel:DWORD src1_sel:WORD_1
	global_store_short v[29:30], v31, off
	s_or_b64 exec, exec, s[8:9]
	s_and_saveexec_b64 s[8:9], s[2:3]
	s_cbranch_execz .LBB35_18
.LBB35_22:                              ;   in Loop: Header=BB35_9 Depth=1
	v_and_b32_e32 v29, 0xffff0000, v3
	v_and_b32_e32 v30, 0xffff0000, v1
	v_sub_f32_e32 v31, v30, v29
	v_fmac_f32_e32 v29, s22, v31
	v_fma_f32 v30, -v23, v31, v30
	v_cndmask_b32_e64 v29, v30, v29, s[0:1]
	v_bfe_u32 v30, v29, 16, 1
	v_add3_u32 v30, v29, v30, s24
	v_cmp_o_f32_e32 vcc, v29, v29
	v_cndmask_b32_sdwa v31, v28, v30, vcc dst_sel:DWORD dst_unused:UNUSED_PAD src0_sel:DWORD src1_sel:WORD_1
	v_mov_b32_e32 v30, s11
	v_add_co_u32_e32 v29, vcc, s10, v19
	v_addc_co_u32_e32 v30, vcc, v20, v30, vcc
	global_store_short v[29:30], v31, off
	s_or_b64 exec, exec, s[8:9]
	s_and_saveexec_b64 s[2:3], s[4:5]
	s_cbranch_execz .LBB35_19
.LBB35_23:                              ;   in Loop: Header=BB35_9 Depth=1
	v_alignbit_b32 v3, v4, v3, 16
	v_alignbit_b32 v1, v2, v1, 16
	v_and_b32_e32 v3, 0xffff0000, v3
	v_and_b32_e32 v1, 0xffff0000, v1
	v_sub_f32_e32 v29, v1, v3
	v_fmac_f32_e32 v3, s22, v29
	v_fma_f32 v1, -v23, v29, v1
	v_cndmask_b32_e64 v1, v1, v3, s[0:1]
	v_bfe_u32 v3, v1, 16, 1
	v_add3_u32 v3, v1, v3, s24
	v_cmp_o_f32_e32 vcc, v1, v1
	v_cndmask_b32_sdwa v1, v28, v3, vcc dst_sel:DWORD dst_unused:UNUSED_PAD src0_sel:DWORD src1_sel:WORD_1
	v_mov_b32_e32 v3, s11
	v_add_co_u32_e32 v29, vcc, s10, v13
	v_addc_co_u32_e32 v30, vcc, v14, v3, vcc
	global_store_short v[29:30], v1, off
	s_or_b64 exec, exec, s[2:3]
	s_and_saveexec_b64 s[2:3], s[6:7]
	s_cbranch_execz .LBB35_8
.LBB35_24:                              ;   in Loop: Header=BB35_9 Depth=1
	v_and_b32_e32 v1, 0xffff0000, v4
	v_and_b32_e32 v2, 0xffff0000, v2
	v_sub_f32_e32 v3, v2, v1
	v_fmac_f32_e32 v1, s22, v3
	v_fma_f32 v2, -v23, v3, v2
	v_cndmask_b32_e64 v1, v2, v1, s[0:1]
	v_bfe_u32 v2, v1, 16, 1
	v_add3_u32 v2, v1, v2, s24
	v_cmp_o_f32_e32 vcc, v1, v1
	v_cndmask_b32_sdwa v3, v28, v2, vcc dst_sel:DWORD dst_unused:UNUSED_PAD src0_sel:DWORD src1_sel:WORD_1
	v_mov_b32_e32 v2, s11
	v_add_co_u32_e32 v1, vcc, s10, v9
	v_addc_co_u32_e32 v2, vcc, v10, v2, vcc
	global_store_short v[1:2], v3, off
	s_branch .LBB35_8
.LBB35_25:
	s_endpgm
	.section	.rodata,"a",@progbits
	.p2align	6, 0x0
	.amdhsa_kernel _ZN2at6native12_GLOBAL__N_125multi_tensor_apply_kernelINS1_28TensorListScalarListMetadataIfLi2EEENS1_26TernaryOpScalarListFunctorIN3c108BFloat16ELi2ELi2ELi0EEEJNS0_11LerpFunctorIfEEEEEvT_T0_DpT1_
		.amdhsa_group_segment_fixed_size 0
		.amdhsa_private_segment_fixed_size 0
		.amdhsa_kernarg_size 3656
		.amdhsa_user_sgpr_count 6
		.amdhsa_user_sgpr_private_segment_buffer 1
		.amdhsa_user_sgpr_dispatch_ptr 0
		.amdhsa_user_sgpr_queue_ptr 0
		.amdhsa_user_sgpr_kernarg_segment_ptr 1
		.amdhsa_user_sgpr_dispatch_id 0
		.amdhsa_user_sgpr_flat_scratch_init 0
		.amdhsa_user_sgpr_private_segment_size 0
		.amdhsa_uses_dynamic_stack 0
		.amdhsa_system_sgpr_private_segment_wavefront_offset 0
		.amdhsa_system_sgpr_workgroup_id_x 1
		.amdhsa_system_sgpr_workgroup_id_y 0
		.amdhsa_system_sgpr_workgroup_id_z 0
		.amdhsa_system_sgpr_workgroup_info 0
		.amdhsa_system_vgpr_workitem_id 0
		.amdhsa_next_free_vgpr 33
		.amdhsa_next_free_sgpr 26
		.amdhsa_reserve_vcc 1
		.amdhsa_reserve_flat_scratch 0
		.amdhsa_float_round_mode_32 0
		.amdhsa_float_round_mode_16_64 0
		.amdhsa_float_denorm_mode_32 3
		.amdhsa_float_denorm_mode_16_64 3
		.amdhsa_dx10_clamp 1
		.amdhsa_ieee_mode 1
		.amdhsa_fp16_overflow 0
		.amdhsa_exception_fp_ieee_invalid_op 0
		.amdhsa_exception_fp_denorm_src 0
		.amdhsa_exception_fp_ieee_div_zero 0
		.amdhsa_exception_fp_ieee_overflow 0
		.amdhsa_exception_fp_ieee_underflow 0
		.amdhsa_exception_fp_ieee_inexact 0
		.amdhsa_exception_int_div_zero 0
	.end_amdhsa_kernel
	.section	.text._ZN2at6native12_GLOBAL__N_125multi_tensor_apply_kernelINS1_28TensorListScalarListMetadataIfLi2EEENS1_26TernaryOpScalarListFunctorIN3c108BFloat16ELi2ELi2ELi0EEEJNS0_11LerpFunctorIfEEEEEvT_T0_DpT1_,"axG",@progbits,_ZN2at6native12_GLOBAL__N_125multi_tensor_apply_kernelINS1_28TensorListScalarListMetadataIfLi2EEENS1_26TernaryOpScalarListFunctorIN3c108BFloat16ELi2ELi2ELi0EEEJNS0_11LerpFunctorIfEEEEEvT_T0_DpT1_,comdat
.Lfunc_end35:
	.size	_ZN2at6native12_GLOBAL__N_125multi_tensor_apply_kernelINS1_28TensorListScalarListMetadataIfLi2EEENS1_26TernaryOpScalarListFunctorIN3c108BFloat16ELi2ELi2ELi0EEEJNS0_11LerpFunctorIfEEEEEvT_T0_DpT1_, .Lfunc_end35-_ZN2at6native12_GLOBAL__N_125multi_tensor_apply_kernelINS1_28TensorListScalarListMetadataIfLi2EEENS1_26TernaryOpScalarListFunctorIN3c108BFloat16ELi2ELi2ELi0EEEJNS0_11LerpFunctorIfEEEEEvT_T0_DpT1_
                                        ; -- End function
	.set _ZN2at6native12_GLOBAL__N_125multi_tensor_apply_kernelINS1_28TensorListScalarListMetadataIfLi2EEENS1_26TernaryOpScalarListFunctorIN3c108BFloat16ELi2ELi2ELi0EEEJNS0_11LerpFunctorIfEEEEEvT_T0_DpT1_.num_vgpr, 33
	.set _ZN2at6native12_GLOBAL__N_125multi_tensor_apply_kernelINS1_28TensorListScalarListMetadataIfLi2EEENS1_26TernaryOpScalarListFunctorIN3c108BFloat16ELi2ELi2ELi0EEEJNS0_11LerpFunctorIfEEEEEvT_T0_DpT1_.num_agpr, 0
	.set _ZN2at6native12_GLOBAL__N_125multi_tensor_apply_kernelINS1_28TensorListScalarListMetadataIfLi2EEENS1_26TernaryOpScalarListFunctorIN3c108BFloat16ELi2ELi2ELi0EEEJNS0_11LerpFunctorIfEEEEEvT_T0_DpT1_.numbered_sgpr, 26
	.set _ZN2at6native12_GLOBAL__N_125multi_tensor_apply_kernelINS1_28TensorListScalarListMetadataIfLi2EEENS1_26TernaryOpScalarListFunctorIN3c108BFloat16ELi2ELi2ELi0EEEJNS0_11LerpFunctorIfEEEEEvT_T0_DpT1_.num_named_barrier, 0
	.set _ZN2at6native12_GLOBAL__N_125multi_tensor_apply_kernelINS1_28TensorListScalarListMetadataIfLi2EEENS1_26TernaryOpScalarListFunctorIN3c108BFloat16ELi2ELi2ELi0EEEJNS0_11LerpFunctorIfEEEEEvT_T0_DpT1_.private_seg_size, 0
	.set _ZN2at6native12_GLOBAL__N_125multi_tensor_apply_kernelINS1_28TensorListScalarListMetadataIfLi2EEENS1_26TernaryOpScalarListFunctorIN3c108BFloat16ELi2ELi2ELi0EEEJNS0_11LerpFunctorIfEEEEEvT_T0_DpT1_.uses_vcc, 1
	.set _ZN2at6native12_GLOBAL__N_125multi_tensor_apply_kernelINS1_28TensorListScalarListMetadataIfLi2EEENS1_26TernaryOpScalarListFunctorIN3c108BFloat16ELi2ELi2ELi0EEEJNS0_11LerpFunctorIfEEEEEvT_T0_DpT1_.uses_flat_scratch, 0
	.set _ZN2at6native12_GLOBAL__N_125multi_tensor_apply_kernelINS1_28TensorListScalarListMetadataIfLi2EEENS1_26TernaryOpScalarListFunctorIN3c108BFloat16ELi2ELi2ELi0EEEJNS0_11LerpFunctorIfEEEEEvT_T0_DpT1_.has_dyn_sized_stack, 0
	.set _ZN2at6native12_GLOBAL__N_125multi_tensor_apply_kernelINS1_28TensorListScalarListMetadataIfLi2EEENS1_26TernaryOpScalarListFunctorIN3c108BFloat16ELi2ELi2ELi0EEEJNS0_11LerpFunctorIfEEEEEvT_T0_DpT1_.has_recursion, 0
	.set _ZN2at6native12_GLOBAL__N_125multi_tensor_apply_kernelINS1_28TensorListScalarListMetadataIfLi2EEENS1_26TernaryOpScalarListFunctorIN3c108BFloat16ELi2ELi2ELi0EEEJNS0_11LerpFunctorIfEEEEEvT_T0_DpT1_.has_indirect_call, 0
	.section	.AMDGPU.csdata,"",@progbits
; Kernel info:
; codeLenInByte = 2200
; TotalNumSgprs: 30
; NumVgprs: 33
; ScratchSize: 0
; MemoryBound: 0
; FloatMode: 240
; IeeeMode: 1
; LDSByteSize: 0 bytes/workgroup (compile time only)
; SGPRBlocks: 3
; VGPRBlocks: 8
; NumSGPRsForWavesPerEU: 30
; NumVGPRsForWavesPerEU: 33
; Occupancy: 7
; WaveLimiterHint : 0
; COMPUTE_PGM_RSRC2:SCRATCH_EN: 0
; COMPUTE_PGM_RSRC2:USER_SGPR: 6
; COMPUTE_PGM_RSRC2:TRAP_HANDLER: 0
; COMPUTE_PGM_RSRC2:TGID_X_EN: 1
; COMPUTE_PGM_RSRC2:TGID_Y_EN: 0
; COMPUTE_PGM_RSRC2:TGID_Z_EN: 0
; COMPUTE_PGM_RSRC2:TIDIG_COMP_CNT: 0
	.section	.AMDGPU.gpr_maximums,"",@progbits
	.set amdgpu.max_num_vgpr, 0
	.set amdgpu.max_num_agpr, 0
	.set amdgpu.max_num_sgpr, 0
	.section	.AMDGPU.csdata,"",@progbits
	.type	__hip_cuid_f453b9480aefee6e,@object ; @__hip_cuid_f453b9480aefee6e
	.section	.bss,"aw",@nobits
	.globl	__hip_cuid_f453b9480aefee6e
__hip_cuid_f453b9480aefee6e:
	.byte	0                               ; 0x0
	.size	__hip_cuid_f453b9480aefee6e, 1

	.ident	"AMD clang version 22.0.0git (https://github.com/RadeonOpenCompute/llvm-project roc-7.2.4 26084 f58b06dce1f9c15707c5f808fd002e18c2accf7e)"
	.section	".note.GNU-stack","",@progbits
	.addrsig
	.addrsig_sym __hip_cuid_f453b9480aefee6e
	.amdgpu_metadata
---
amdhsa.kernels:
  - .args:
      - .offset:         0
        .size:           3048
        .value_kind:     by_value
      - .offset:         3048
        .size:           1
        .value_kind:     by_value
      - .offset:         3049
        .size:           1
        .value_kind:     by_value
      - .offset:         3056
        .size:           4
        .value_kind:     hidden_block_count_x
      - .offset:         3060
        .size:           4
        .value_kind:     hidden_block_count_y
      - .offset:         3064
        .size:           4
        .value_kind:     hidden_block_count_z
      - .offset:         3068
        .size:           2
        .value_kind:     hidden_group_size_x
      - .offset:         3070
        .size:           2
        .value_kind:     hidden_group_size_y
      - .offset:         3072
        .size:           2
        .value_kind:     hidden_group_size_z
      - .offset:         3074
        .size:           2
        .value_kind:     hidden_remainder_x
      - .offset:         3076
        .size:           2
        .value_kind:     hidden_remainder_y
      - .offset:         3078
        .size:           2
        .value_kind:     hidden_remainder_z
      - .offset:         3096
        .size:           8
        .value_kind:     hidden_global_offset_x
      - .offset:         3104
        .size:           8
        .value_kind:     hidden_global_offset_y
      - .offset:         3112
        .size:           8
        .value_kind:     hidden_global_offset_z
      - .offset:         3120
        .size:           2
        .value_kind:     hidden_grid_dims
    .group_segment_fixed_size: 0
    .kernarg_segment_align: 8
    .kernarg_segment_size: 3312
    .language:       OpenCL C
    .language_version:
      - 2
      - 0
    .max_flat_workgroup_size: 512
    .name:           _ZN2at6native12_GLOBAL__N_125multi_tensor_apply_kernelINS1_18TensorListMetadataILi4EEENS1_20TernaryOpListFunctorIdLi4ELi3ELi3EEEJNS0_11LerpFunctorIdEEEEEvT_T0_DpT1_
    .private_segment_fixed_size: 0
    .sgpr_count:     40
    .sgpr_spill_count: 0
    .symbol:         _ZN2at6native12_GLOBAL__N_125multi_tensor_apply_kernelINS1_18TensorListMetadataILi4EEENS1_20TernaryOpListFunctorIdLi4ELi3ELi3EEEJNS0_11LerpFunctorIdEEEEEvT_T0_DpT1_.kd
    .uniform_work_group_size: 1
    .uses_dynamic_stack: false
    .vgpr_count:     67
    .vgpr_spill_count: 0
    .wavefront_size: 64
  - .args:
      - .offset:         0
        .size:           3048
        .value_kind:     by_value
      - .offset:         3048
        .size:           1
        .value_kind:     by_value
      - .offset:         3049
        .size:           1
        .value_kind:     by_value
      - .offset:         3056
        .size:           4
        .value_kind:     hidden_block_count_x
      - .offset:         3060
        .size:           4
        .value_kind:     hidden_block_count_y
      - .offset:         3064
        .size:           4
        .value_kind:     hidden_block_count_z
      - .offset:         3068
        .size:           2
        .value_kind:     hidden_group_size_x
      - .offset:         3070
        .size:           2
        .value_kind:     hidden_group_size_y
      - .offset:         3072
        .size:           2
        .value_kind:     hidden_group_size_z
      - .offset:         3074
        .size:           2
        .value_kind:     hidden_remainder_x
      - .offset:         3076
        .size:           2
        .value_kind:     hidden_remainder_y
      - .offset:         3078
        .size:           2
        .value_kind:     hidden_remainder_z
      - .offset:         3096
        .size:           8
        .value_kind:     hidden_global_offset_x
      - .offset:         3104
        .size:           8
        .value_kind:     hidden_global_offset_y
      - .offset:         3112
        .size:           8
        .value_kind:     hidden_global_offset_z
      - .offset:         3120
        .size:           2
        .value_kind:     hidden_grid_dims
    .group_segment_fixed_size: 0
    .kernarg_segment_align: 8
    .kernarg_segment_size: 3312
    .language:       OpenCL C
    .language_version:
      - 2
      - 0
    .max_flat_workgroup_size: 512
    .name:           _ZN2at6native12_GLOBAL__N_125multi_tensor_apply_kernelINS1_18TensorListMetadataILi4EEENS1_20TernaryOpListFunctorIfLi4ELi3ELi3EEEJNS0_11LerpFunctorIfEEEEEvT_T0_DpT1_
    .private_segment_fixed_size: 0
    .sgpr_count:     41
    .sgpr_spill_count: 0
    .symbol:         _ZN2at6native12_GLOBAL__N_125multi_tensor_apply_kernelINS1_18TensorListMetadataILi4EEENS1_20TernaryOpListFunctorIfLi4ELi3ELi3EEEJNS0_11LerpFunctorIfEEEEEvT_T0_DpT1_.kd
    .uniform_work_group_size: 1
    .uses_dynamic_stack: false
    .vgpr_count:     55
    .vgpr_spill_count: 0
    .wavefront_size: 64
  - .args:
      - .offset:         0
        .size:           3048
        .value_kind:     by_value
      - .offset:         3048
        .size:           1
        .value_kind:     by_value
      - .offset:         3049
        .size:           1
        .value_kind:     by_value
      - .offset:         3056
        .size:           4
        .value_kind:     hidden_block_count_x
      - .offset:         3060
        .size:           4
        .value_kind:     hidden_block_count_y
      - .offset:         3064
        .size:           4
        .value_kind:     hidden_block_count_z
      - .offset:         3068
        .size:           2
        .value_kind:     hidden_group_size_x
      - .offset:         3070
        .size:           2
        .value_kind:     hidden_group_size_y
      - .offset:         3072
        .size:           2
        .value_kind:     hidden_group_size_z
      - .offset:         3074
        .size:           2
        .value_kind:     hidden_remainder_x
      - .offset:         3076
        .size:           2
        .value_kind:     hidden_remainder_y
      - .offset:         3078
        .size:           2
        .value_kind:     hidden_remainder_z
      - .offset:         3096
        .size:           8
        .value_kind:     hidden_global_offset_x
      - .offset:         3104
        .size:           8
        .value_kind:     hidden_global_offset_y
      - .offset:         3112
        .size:           8
        .value_kind:     hidden_global_offset_z
      - .offset:         3120
        .size:           2
        .value_kind:     hidden_grid_dims
    .group_segment_fixed_size: 0
    .kernarg_segment_align: 8
    .kernarg_segment_size: 3312
    .language:       OpenCL C
    .language_version:
      - 2
      - 0
    .max_flat_workgroup_size: 512
    .name:           _ZN2at6native12_GLOBAL__N_125multi_tensor_apply_kernelINS1_18TensorListMetadataILi4EEENS1_20TernaryOpListFunctorIN3c107complexIdEELi4ELi3ELi3EEEJNS0_11LerpFunctorIS8_EEEEEvT_T0_DpT1_
    .private_segment_fixed_size: 0
    .sgpr_count:     36
    .sgpr_spill_count: 0
    .symbol:         _ZN2at6native12_GLOBAL__N_125multi_tensor_apply_kernelINS1_18TensorListMetadataILi4EEENS1_20TernaryOpListFunctorIN3c107complexIdEELi4ELi3ELi3EEEJNS0_11LerpFunctorIS8_EEEEEvT_T0_DpT1_.kd
    .uniform_work_group_size: 1
    .uses_dynamic_stack: false
    .vgpr_count:     65
    .vgpr_spill_count: 0
    .wavefront_size: 64
  - .args:
      - .offset:         0
        .size:           3048
        .value_kind:     by_value
      - .offset:         3048
        .size:           1
        .value_kind:     by_value
      - .offset:         3049
        .size:           1
        .value_kind:     by_value
      - .offset:         3056
        .size:           4
        .value_kind:     hidden_block_count_x
      - .offset:         3060
        .size:           4
        .value_kind:     hidden_block_count_y
      - .offset:         3064
        .size:           4
        .value_kind:     hidden_block_count_z
      - .offset:         3068
        .size:           2
        .value_kind:     hidden_group_size_x
      - .offset:         3070
        .size:           2
        .value_kind:     hidden_group_size_y
      - .offset:         3072
        .size:           2
        .value_kind:     hidden_group_size_z
      - .offset:         3074
        .size:           2
        .value_kind:     hidden_remainder_x
      - .offset:         3076
        .size:           2
        .value_kind:     hidden_remainder_y
      - .offset:         3078
        .size:           2
        .value_kind:     hidden_remainder_z
      - .offset:         3096
        .size:           8
        .value_kind:     hidden_global_offset_x
      - .offset:         3104
        .size:           8
        .value_kind:     hidden_global_offset_y
      - .offset:         3112
        .size:           8
        .value_kind:     hidden_global_offset_z
      - .offset:         3120
        .size:           2
        .value_kind:     hidden_grid_dims
    .group_segment_fixed_size: 0
    .kernarg_segment_align: 8
    .kernarg_segment_size: 3312
    .language:       OpenCL C
    .language_version:
      - 2
      - 0
    .max_flat_workgroup_size: 512
    .name:           _ZN2at6native12_GLOBAL__N_125multi_tensor_apply_kernelINS1_18TensorListMetadataILi4EEENS1_20TernaryOpListFunctorIN3c107complexIfEELi4ELi3ELi3EEEJNS0_11LerpFunctorIS8_EEEEEvT_T0_DpT1_
    .private_segment_fixed_size: 0
    .sgpr_count:     35
    .sgpr_spill_count: 0
    .symbol:         _ZN2at6native12_GLOBAL__N_125multi_tensor_apply_kernelINS1_18TensorListMetadataILi4EEENS1_20TernaryOpListFunctorIN3c107complexIfEELi4ELi3ELi3EEEJNS0_11LerpFunctorIS8_EEEEEvT_T0_DpT1_.kd
    .uniform_work_group_size: 1
    .uses_dynamic_stack: false
    .vgpr_count:     37
    .vgpr_spill_count: 0
    .wavefront_size: 64
  - .args:
      - .offset:         0
        .size:           3048
        .value_kind:     by_value
      - .offset:         3048
        .size:           1
        .value_kind:     by_value
      - .offset:         3049
        .size:           1
        .value_kind:     by_value
      - .offset:         3056
        .size:           4
        .value_kind:     hidden_block_count_x
      - .offset:         3060
        .size:           4
        .value_kind:     hidden_block_count_y
      - .offset:         3064
        .size:           4
        .value_kind:     hidden_block_count_z
      - .offset:         3068
        .size:           2
        .value_kind:     hidden_group_size_x
      - .offset:         3070
        .size:           2
        .value_kind:     hidden_group_size_y
      - .offset:         3072
        .size:           2
        .value_kind:     hidden_group_size_z
      - .offset:         3074
        .size:           2
        .value_kind:     hidden_remainder_x
      - .offset:         3076
        .size:           2
        .value_kind:     hidden_remainder_y
      - .offset:         3078
        .size:           2
        .value_kind:     hidden_remainder_z
      - .offset:         3096
        .size:           8
        .value_kind:     hidden_global_offset_x
      - .offset:         3104
        .size:           8
        .value_kind:     hidden_global_offset_y
      - .offset:         3112
        .size:           8
        .value_kind:     hidden_global_offset_z
      - .offset:         3120
        .size:           2
        .value_kind:     hidden_grid_dims
    .group_segment_fixed_size: 0
    .kernarg_segment_align: 8
    .kernarg_segment_size: 3312
    .language:       OpenCL C
    .language_version:
      - 2
      - 0
    .max_flat_workgroup_size: 512
    .name:           _ZN2at6native12_GLOBAL__N_125multi_tensor_apply_kernelINS1_18TensorListMetadataILi4EEENS1_20TernaryOpListFunctorIN3c104HalfELi4ELi3ELi3EEEJNS0_11LerpFunctorIfEEEEEvT_T0_DpT1_
    .private_segment_fixed_size: 0
    .sgpr_count:     34
    .sgpr_spill_count: 0
    .symbol:         _ZN2at6native12_GLOBAL__N_125multi_tensor_apply_kernelINS1_18TensorListMetadataILi4EEENS1_20TernaryOpListFunctorIN3c104HalfELi4ELi3ELi3EEEJNS0_11LerpFunctorIfEEEEEvT_T0_DpT1_.kd
    .uniform_work_group_size: 1
    .uses_dynamic_stack: false
    .vgpr_count:     54
    .vgpr_spill_count: 0
    .wavefront_size: 64
  - .args:
      - .offset:         0
        .size:           3048
        .value_kind:     by_value
      - .offset:         3048
        .size:           1
        .value_kind:     by_value
      - .offset:         3049
        .size:           1
        .value_kind:     by_value
      - .offset:         3056
        .size:           4
        .value_kind:     hidden_block_count_x
      - .offset:         3060
        .size:           4
        .value_kind:     hidden_block_count_y
      - .offset:         3064
        .size:           4
        .value_kind:     hidden_block_count_z
      - .offset:         3068
        .size:           2
        .value_kind:     hidden_group_size_x
      - .offset:         3070
        .size:           2
        .value_kind:     hidden_group_size_y
      - .offset:         3072
        .size:           2
        .value_kind:     hidden_group_size_z
      - .offset:         3074
        .size:           2
        .value_kind:     hidden_remainder_x
      - .offset:         3076
        .size:           2
        .value_kind:     hidden_remainder_y
      - .offset:         3078
        .size:           2
        .value_kind:     hidden_remainder_z
      - .offset:         3096
        .size:           8
        .value_kind:     hidden_global_offset_x
      - .offset:         3104
        .size:           8
        .value_kind:     hidden_global_offset_y
      - .offset:         3112
        .size:           8
        .value_kind:     hidden_global_offset_z
      - .offset:         3120
        .size:           2
        .value_kind:     hidden_grid_dims
    .group_segment_fixed_size: 0
    .kernarg_segment_align: 8
    .kernarg_segment_size: 3312
    .language:       OpenCL C
    .language_version:
      - 2
      - 0
    .max_flat_workgroup_size: 512
    .name:           _ZN2at6native12_GLOBAL__N_125multi_tensor_apply_kernelINS1_18TensorListMetadataILi4EEENS1_20TernaryOpListFunctorIN3c108BFloat16ELi4ELi3ELi3EEEJNS0_11LerpFunctorIfEEEEEvT_T0_DpT1_
    .private_segment_fixed_size: 0
    .sgpr_count:     31
    .sgpr_spill_count: 0
    .symbol:         _ZN2at6native12_GLOBAL__N_125multi_tensor_apply_kernelINS1_18TensorListMetadataILi4EEENS1_20TernaryOpListFunctorIN3c108BFloat16ELi4ELi3ELi3EEEJNS0_11LerpFunctorIfEEEEEvT_T0_DpT1_.kd
    .uniform_work_group_size: 1
    .uses_dynamic_stack: false
    .vgpr_count:     51
    .vgpr_spill_count: 0
    .wavefront_size: 64
  - .args:
      - .offset:         0
        .size:           3144
        .value_kind:     by_value
      - .offset:         3144
        .size:           1
        .value_kind:     by_value
      - .offset:         3145
        .size:           1
        .value_kind:     by_value
      - .offset:         3152
        .size:           4
        .value_kind:     hidden_block_count_x
      - .offset:         3156
        .size:           4
        .value_kind:     hidden_block_count_y
      - .offset:         3160
        .size:           4
        .value_kind:     hidden_block_count_z
      - .offset:         3164
        .size:           2
        .value_kind:     hidden_group_size_x
      - .offset:         3166
        .size:           2
        .value_kind:     hidden_group_size_y
      - .offset:         3168
        .size:           2
        .value_kind:     hidden_group_size_z
      - .offset:         3170
        .size:           2
        .value_kind:     hidden_remainder_x
      - .offset:         3172
        .size:           2
        .value_kind:     hidden_remainder_y
      - .offset:         3174
        .size:           2
        .value_kind:     hidden_remainder_z
      - .offset:         3192
        .size:           8
        .value_kind:     hidden_global_offset_x
      - .offset:         3200
        .size:           8
        .value_kind:     hidden_global_offset_y
      - .offset:         3208
        .size:           8
        .value_kind:     hidden_global_offset_z
      - .offset:         3216
        .size:           2
        .value_kind:     hidden_grid_dims
    .group_segment_fixed_size: 0
    .kernarg_segment_align: 8
    .kernarg_segment_size: 3408
    .language:       OpenCL C
    .language_version:
      - 2
      - 0
    .max_flat_workgroup_size: 512
    .name:           _ZN2at6native12_GLOBAL__N_125multi_tensor_apply_kernelINS1_18TensorListMetadataILi3EEENS1_20TernaryOpListFunctorIdLi3ELi3ELi0EEEJNS0_11LerpFunctorIdEEEEEvT_T0_DpT1_
    .private_segment_fixed_size: 0
    .sgpr_count:     34
    .sgpr_spill_count: 0
    .symbol:         _ZN2at6native12_GLOBAL__N_125multi_tensor_apply_kernelINS1_18TensorListMetadataILi3EEENS1_20TernaryOpListFunctorIdLi3ELi3ELi0EEEJNS0_11LerpFunctorIdEEEEEvT_T0_DpT1_.kd
    .uniform_work_group_size: 1
    .uses_dynamic_stack: false
    .vgpr_count:     59
    .vgpr_spill_count: 0
    .wavefront_size: 64
  - .args:
      - .offset:         0
        .size:           3144
        .value_kind:     by_value
      - .offset:         3144
        .size:           1
        .value_kind:     by_value
      - .offset:         3145
        .size:           1
        .value_kind:     by_value
      - .offset:         3152
        .size:           4
        .value_kind:     hidden_block_count_x
      - .offset:         3156
        .size:           4
        .value_kind:     hidden_block_count_y
      - .offset:         3160
        .size:           4
        .value_kind:     hidden_block_count_z
      - .offset:         3164
        .size:           2
        .value_kind:     hidden_group_size_x
      - .offset:         3166
        .size:           2
        .value_kind:     hidden_group_size_y
      - .offset:         3168
        .size:           2
        .value_kind:     hidden_group_size_z
      - .offset:         3170
        .size:           2
        .value_kind:     hidden_remainder_x
      - .offset:         3172
        .size:           2
        .value_kind:     hidden_remainder_y
      - .offset:         3174
        .size:           2
        .value_kind:     hidden_remainder_z
      - .offset:         3192
        .size:           8
        .value_kind:     hidden_global_offset_x
      - .offset:         3200
        .size:           8
        .value_kind:     hidden_global_offset_y
      - .offset:         3208
        .size:           8
        .value_kind:     hidden_global_offset_z
      - .offset:         3216
        .size:           2
        .value_kind:     hidden_grid_dims
    .group_segment_fixed_size: 0
    .kernarg_segment_align: 8
    .kernarg_segment_size: 3408
    .language:       OpenCL C
    .language_version:
      - 2
      - 0
    .max_flat_workgroup_size: 512
    .name:           _ZN2at6native12_GLOBAL__N_125multi_tensor_apply_kernelINS1_18TensorListMetadataILi3EEENS1_20TernaryOpListFunctorIfLi3ELi3ELi0EEEJNS0_11LerpFunctorIfEEEEEvT_T0_DpT1_
    .private_segment_fixed_size: 0
    .sgpr_count:     36
    .sgpr_spill_count: 0
    .symbol:         _ZN2at6native12_GLOBAL__N_125multi_tensor_apply_kernelINS1_18TensorListMetadataILi3EEENS1_20TernaryOpListFunctorIfLi3ELi3ELi0EEEJNS0_11LerpFunctorIfEEEEEvT_T0_DpT1_.kd
    .uniform_work_group_size: 1
    .uses_dynamic_stack: false
    .vgpr_count:     47
    .vgpr_spill_count: 0
    .wavefront_size: 64
  - .args:
      - .offset:         0
        .size:           3144
        .value_kind:     by_value
      - .offset:         3144
        .size:           1
        .value_kind:     by_value
      - .offset:         3145
        .size:           1
        .value_kind:     by_value
      - .offset:         3152
        .size:           4
        .value_kind:     hidden_block_count_x
      - .offset:         3156
        .size:           4
        .value_kind:     hidden_block_count_y
      - .offset:         3160
        .size:           4
        .value_kind:     hidden_block_count_z
      - .offset:         3164
        .size:           2
        .value_kind:     hidden_group_size_x
      - .offset:         3166
        .size:           2
        .value_kind:     hidden_group_size_y
      - .offset:         3168
        .size:           2
        .value_kind:     hidden_group_size_z
      - .offset:         3170
        .size:           2
        .value_kind:     hidden_remainder_x
      - .offset:         3172
        .size:           2
        .value_kind:     hidden_remainder_y
      - .offset:         3174
        .size:           2
        .value_kind:     hidden_remainder_z
      - .offset:         3192
        .size:           8
        .value_kind:     hidden_global_offset_x
      - .offset:         3200
        .size:           8
        .value_kind:     hidden_global_offset_y
      - .offset:         3208
        .size:           8
        .value_kind:     hidden_global_offset_z
      - .offset:         3216
        .size:           2
        .value_kind:     hidden_grid_dims
    .group_segment_fixed_size: 0
    .kernarg_segment_align: 8
    .kernarg_segment_size: 3408
    .language:       OpenCL C
    .language_version:
      - 2
      - 0
    .max_flat_workgroup_size: 512
    .name:           _ZN2at6native12_GLOBAL__N_125multi_tensor_apply_kernelINS1_18TensorListMetadataILi3EEENS1_20TernaryOpListFunctorIN3c107complexIdEELi3ELi3ELi0EEEJNS0_11LerpFunctorIS8_EEEEEvT_T0_DpT1_
    .private_segment_fixed_size: 0
    .sgpr_count:     32
    .sgpr_spill_count: 0
    .symbol:         _ZN2at6native12_GLOBAL__N_125multi_tensor_apply_kernelINS1_18TensorListMetadataILi3EEENS1_20TernaryOpListFunctorIN3c107complexIdEELi3ELi3ELi0EEEJNS0_11LerpFunctorIS8_EEEEEvT_T0_DpT1_.kd
    .uniform_work_group_size: 1
    .uses_dynamic_stack: false
    .vgpr_count:     65
    .vgpr_spill_count: 0
    .wavefront_size: 64
  - .args:
      - .offset:         0
        .size:           3144
        .value_kind:     by_value
      - .offset:         3144
        .size:           1
        .value_kind:     by_value
      - .offset:         3145
        .size:           1
        .value_kind:     by_value
      - .offset:         3152
        .size:           4
        .value_kind:     hidden_block_count_x
      - .offset:         3156
        .size:           4
        .value_kind:     hidden_block_count_y
      - .offset:         3160
        .size:           4
        .value_kind:     hidden_block_count_z
      - .offset:         3164
        .size:           2
        .value_kind:     hidden_group_size_x
      - .offset:         3166
        .size:           2
        .value_kind:     hidden_group_size_y
      - .offset:         3168
        .size:           2
        .value_kind:     hidden_group_size_z
      - .offset:         3170
        .size:           2
        .value_kind:     hidden_remainder_x
      - .offset:         3172
        .size:           2
        .value_kind:     hidden_remainder_y
      - .offset:         3174
        .size:           2
        .value_kind:     hidden_remainder_z
      - .offset:         3192
        .size:           8
        .value_kind:     hidden_global_offset_x
      - .offset:         3200
        .size:           8
        .value_kind:     hidden_global_offset_y
      - .offset:         3208
        .size:           8
        .value_kind:     hidden_global_offset_z
      - .offset:         3216
        .size:           2
        .value_kind:     hidden_grid_dims
    .group_segment_fixed_size: 0
    .kernarg_segment_align: 8
    .kernarg_segment_size: 3408
    .language:       OpenCL C
    .language_version:
      - 2
      - 0
    .max_flat_workgroup_size: 512
    .name:           _ZN2at6native12_GLOBAL__N_125multi_tensor_apply_kernelINS1_18TensorListMetadataILi3EEENS1_20TernaryOpListFunctorIN3c107complexIfEELi3ELi3ELi0EEEJNS0_11LerpFunctorIS8_EEEEEvT_T0_DpT1_
    .private_segment_fixed_size: 0
    .sgpr_count:     31
    .sgpr_spill_count: 0
    .symbol:         _ZN2at6native12_GLOBAL__N_125multi_tensor_apply_kernelINS1_18TensorListMetadataILi3EEENS1_20TernaryOpListFunctorIN3c107complexIfEELi3ELi3ELi0EEEJNS0_11LerpFunctorIS8_EEEEEvT_T0_DpT1_.kd
    .uniform_work_group_size: 1
    .uses_dynamic_stack: false
    .vgpr_count:     37
    .vgpr_spill_count: 0
    .wavefront_size: 64
  - .args:
      - .offset:         0
        .size:           3144
        .value_kind:     by_value
      - .offset:         3144
        .size:           1
        .value_kind:     by_value
      - .offset:         3145
        .size:           1
        .value_kind:     by_value
      - .offset:         3152
        .size:           4
        .value_kind:     hidden_block_count_x
      - .offset:         3156
        .size:           4
        .value_kind:     hidden_block_count_y
      - .offset:         3160
        .size:           4
        .value_kind:     hidden_block_count_z
      - .offset:         3164
        .size:           2
        .value_kind:     hidden_group_size_x
      - .offset:         3166
        .size:           2
        .value_kind:     hidden_group_size_y
      - .offset:         3168
        .size:           2
        .value_kind:     hidden_group_size_z
      - .offset:         3170
        .size:           2
        .value_kind:     hidden_remainder_x
      - .offset:         3172
        .size:           2
        .value_kind:     hidden_remainder_y
      - .offset:         3174
        .size:           2
        .value_kind:     hidden_remainder_z
      - .offset:         3192
        .size:           8
        .value_kind:     hidden_global_offset_x
      - .offset:         3200
        .size:           8
        .value_kind:     hidden_global_offset_y
      - .offset:         3208
        .size:           8
        .value_kind:     hidden_global_offset_z
      - .offset:         3216
        .size:           2
        .value_kind:     hidden_grid_dims
    .group_segment_fixed_size: 0
    .kernarg_segment_align: 8
    .kernarg_segment_size: 3408
    .language:       OpenCL C
    .language_version:
      - 2
      - 0
    .max_flat_workgroup_size: 512
    .name:           _ZN2at6native12_GLOBAL__N_125multi_tensor_apply_kernelINS1_18TensorListMetadataILi3EEENS1_20TernaryOpListFunctorIN3c104HalfELi3ELi3ELi0EEEJNS0_11LerpFunctorIfEEEEEvT_T0_DpT1_
    .private_segment_fixed_size: 0
    .sgpr_count:     32
    .sgpr_spill_count: 0
    .symbol:         _ZN2at6native12_GLOBAL__N_125multi_tensor_apply_kernelINS1_18TensorListMetadataILi3EEENS1_20TernaryOpListFunctorIN3c104HalfELi3ELi3ELi0EEEJNS0_11LerpFunctorIfEEEEEvT_T0_DpT1_.kd
    .uniform_work_group_size: 1
    .uses_dynamic_stack: false
    .vgpr_count:     46
    .vgpr_spill_count: 0
    .wavefront_size: 64
  - .args:
      - .offset:         0
        .size:           3144
        .value_kind:     by_value
      - .offset:         3144
        .size:           1
        .value_kind:     by_value
      - .offset:         3145
        .size:           1
        .value_kind:     by_value
      - .offset:         3152
        .size:           4
        .value_kind:     hidden_block_count_x
      - .offset:         3156
        .size:           4
        .value_kind:     hidden_block_count_y
      - .offset:         3160
        .size:           4
        .value_kind:     hidden_block_count_z
      - .offset:         3164
        .size:           2
        .value_kind:     hidden_group_size_x
      - .offset:         3166
        .size:           2
        .value_kind:     hidden_group_size_y
      - .offset:         3168
        .size:           2
        .value_kind:     hidden_group_size_z
      - .offset:         3170
        .size:           2
        .value_kind:     hidden_remainder_x
      - .offset:         3172
        .size:           2
        .value_kind:     hidden_remainder_y
      - .offset:         3174
        .size:           2
        .value_kind:     hidden_remainder_z
      - .offset:         3192
        .size:           8
        .value_kind:     hidden_global_offset_x
      - .offset:         3200
        .size:           8
        .value_kind:     hidden_global_offset_y
      - .offset:         3208
        .size:           8
        .value_kind:     hidden_global_offset_z
      - .offset:         3216
        .size:           2
        .value_kind:     hidden_grid_dims
    .group_segment_fixed_size: 0
    .kernarg_segment_align: 8
    .kernarg_segment_size: 3408
    .language:       OpenCL C
    .language_version:
      - 2
      - 0
    .max_flat_workgroup_size: 512
    .name:           _ZN2at6native12_GLOBAL__N_125multi_tensor_apply_kernelINS1_18TensorListMetadataILi3EEENS1_20TernaryOpListFunctorIN3c108BFloat16ELi3ELi3ELi0EEEJNS0_11LerpFunctorIfEEEEEvT_T0_DpT1_
    .private_segment_fixed_size: 0
    .sgpr_count:     29
    .sgpr_spill_count: 0
    .symbol:         _ZN2at6native12_GLOBAL__N_125multi_tensor_apply_kernelINS1_18TensorListMetadataILi3EEENS1_20TernaryOpListFunctorIN3c108BFloat16ELi3ELi3ELi0EEEJNS0_11LerpFunctorIfEEEEEvT_T0_DpT1_.kd
    .uniform_work_group_size: 1
    .uses_dynamic_stack: false
    .vgpr_count:     43
    .vgpr_spill_count: 0
    .wavefront_size: 64
  - .args:
      - .offset:         0
        .size:           3144
        .value_kind:     by_value
      - .offset:         3144
        .size:           1
        .value_kind:     by_value
      - .offset:         3145
        .size:           1
        .value_kind:     by_value
      - .offset:         3152
        .size:           8
        .value_kind:     by_value
      - .offset:         3160
        .size:           4
        .value_kind:     hidden_block_count_x
      - .offset:         3164
        .size:           4
        .value_kind:     hidden_block_count_y
      - .offset:         3168
        .size:           4
        .value_kind:     hidden_block_count_z
      - .offset:         3172
        .size:           2
        .value_kind:     hidden_group_size_x
      - .offset:         3174
        .size:           2
        .value_kind:     hidden_group_size_y
      - .offset:         3176
        .size:           2
        .value_kind:     hidden_group_size_z
      - .offset:         3178
        .size:           2
        .value_kind:     hidden_remainder_x
      - .offset:         3180
        .size:           2
        .value_kind:     hidden_remainder_y
      - .offset:         3182
        .size:           2
        .value_kind:     hidden_remainder_z
      - .offset:         3200
        .size:           8
        .value_kind:     hidden_global_offset_x
      - .offset:         3208
        .size:           8
        .value_kind:     hidden_global_offset_y
      - .offset:         3216
        .size:           8
        .value_kind:     hidden_global_offset_z
      - .offset:         3224
        .size:           2
        .value_kind:     hidden_grid_dims
    .group_segment_fixed_size: 0
    .kernarg_segment_align: 8
    .kernarg_segment_size: 3416
    .language:       OpenCL C
    .language_version:
      - 2
      - 0
    .max_flat_workgroup_size: 512
    .name:           _ZN2at6native12_GLOBAL__N_125multi_tensor_apply_kernelINS1_18TensorListMetadataILi3EEENS1_22TernaryOpScalarFunctorIdLi3ELi2ELi2EEEJNS0_11LerpFunctorIdEEdEEEvT_T0_DpT1_
    .private_segment_fixed_size: 0
    .sgpr_count:     36
    .sgpr_spill_count: 0
    .symbol:         _ZN2at6native12_GLOBAL__N_125multi_tensor_apply_kernelINS1_18TensorListMetadataILi3EEENS1_22TernaryOpScalarFunctorIdLi3ELi2ELi2EEEJNS0_11LerpFunctorIdEEdEEEvT_T0_DpT1_.kd
    .uniform_work_group_size: 1
    .uses_dynamic_stack: false
    .vgpr_count:     53
    .vgpr_spill_count: 0
    .wavefront_size: 64
  - .args:
      - .offset:         0
        .size:           3144
        .value_kind:     by_value
      - .offset:         3144
        .size:           1
        .value_kind:     by_value
      - .offset:         3145
        .size:           1
        .value_kind:     by_value
      - .offset:         3148
        .size:           4
        .value_kind:     by_value
      - .offset:         3152
        .size:           4
        .value_kind:     hidden_block_count_x
      - .offset:         3156
        .size:           4
        .value_kind:     hidden_block_count_y
      - .offset:         3160
        .size:           4
        .value_kind:     hidden_block_count_z
      - .offset:         3164
        .size:           2
        .value_kind:     hidden_group_size_x
      - .offset:         3166
        .size:           2
        .value_kind:     hidden_group_size_y
      - .offset:         3168
        .size:           2
        .value_kind:     hidden_group_size_z
      - .offset:         3170
        .size:           2
        .value_kind:     hidden_remainder_x
      - .offset:         3172
        .size:           2
        .value_kind:     hidden_remainder_y
      - .offset:         3174
        .size:           2
        .value_kind:     hidden_remainder_z
      - .offset:         3192
        .size:           8
        .value_kind:     hidden_global_offset_x
      - .offset:         3200
        .size:           8
        .value_kind:     hidden_global_offset_y
      - .offset:         3208
        .size:           8
        .value_kind:     hidden_global_offset_z
      - .offset:         3216
        .size:           2
        .value_kind:     hidden_grid_dims
    .group_segment_fixed_size: 0
    .kernarg_segment_align: 8
    .kernarg_segment_size: 3408
    .language:       OpenCL C
    .language_version:
      - 2
      - 0
    .max_flat_workgroup_size: 512
    .name:           _ZN2at6native12_GLOBAL__N_125multi_tensor_apply_kernelINS1_18TensorListMetadataILi3EEENS1_22TernaryOpScalarFunctorIfLi3ELi2ELi2EEEJNS0_11LerpFunctorIfEEfEEEvT_T0_DpT1_
    .private_segment_fixed_size: 0
    .sgpr_count:     35
    .sgpr_spill_count: 0
    .symbol:         _ZN2at6native12_GLOBAL__N_125multi_tensor_apply_kernelINS1_18TensorListMetadataILi3EEENS1_22TernaryOpScalarFunctorIfLi3ELi2ELi2EEEJNS0_11LerpFunctorIfEEfEEEvT_T0_DpT1_.kd
    .uniform_work_group_size: 1
    .uses_dynamic_stack: false
    .vgpr_count:     44
    .vgpr_spill_count: 0
    .wavefront_size: 64
  - .args:
      - .offset:         0
        .size:           3144
        .value_kind:     by_value
      - .offset:         3144
        .size:           1
        .value_kind:     by_value
      - .offset:         3145
        .size:           1
        .value_kind:     by_value
      - .offset:         3152
        .size:           16
        .value_kind:     by_value
      - .offset:         3168
        .size:           4
        .value_kind:     hidden_block_count_x
      - .offset:         3172
        .size:           4
        .value_kind:     hidden_block_count_y
      - .offset:         3176
        .size:           4
        .value_kind:     hidden_block_count_z
      - .offset:         3180
        .size:           2
        .value_kind:     hidden_group_size_x
      - .offset:         3182
        .size:           2
        .value_kind:     hidden_group_size_y
      - .offset:         3184
        .size:           2
        .value_kind:     hidden_group_size_z
      - .offset:         3186
        .size:           2
        .value_kind:     hidden_remainder_x
      - .offset:         3188
        .size:           2
        .value_kind:     hidden_remainder_y
      - .offset:         3190
        .size:           2
        .value_kind:     hidden_remainder_z
      - .offset:         3208
        .size:           8
        .value_kind:     hidden_global_offset_x
      - .offset:         3216
        .size:           8
        .value_kind:     hidden_global_offset_y
      - .offset:         3224
        .size:           8
        .value_kind:     hidden_global_offset_z
      - .offset:         3232
        .size:           2
        .value_kind:     hidden_grid_dims
    .group_segment_fixed_size: 0
    .kernarg_segment_align: 16
    .kernarg_segment_size: 3424
    .language:       OpenCL C
    .language_version:
      - 2
      - 0
    .max_flat_workgroup_size: 512
    .name:           _ZN2at6native12_GLOBAL__N_125multi_tensor_apply_kernelINS1_18TensorListMetadataILi3EEENS1_22TernaryOpScalarFunctorIN3c107complexIdEELi3ELi2ELi2EEEJNS0_11LerpFunctorIS8_EES8_EEEvT_T0_DpT1_
    .private_segment_fixed_size: 0
    .sgpr_count:     39
    .sgpr_spill_count: 0
    .symbol:         _ZN2at6native12_GLOBAL__N_125multi_tensor_apply_kernelINS1_18TensorListMetadataILi3EEENS1_22TernaryOpScalarFunctorIN3c107complexIdEELi3ELi2ELi2EEEJNS0_11LerpFunctorIS8_EES8_EEEvT_T0_DpT1_.kd
    .uniform_work_group_size: 1
    .uses_dynamic_stack: false
    .vgpr_count:     53
    .vgpr_spill_count: 0
    .wavefront_size: 64
  - .args:
      - .offset:         0
        .size:           3144
        .value_kind:     by_value
      - .offset:         3144
        .size:           1
        .value_kind:     by_value
      - .offset:         3145
        .size:           1
        .value_kind:     by_value
      - .offset:         3152
        .size:           8
        .value_kind:     by_value
      - .offset:         3160
        .size:           4
        .value_kind:     hidden_block_count_x
      - .offset:         3164
        .size:           4
        .value_kind:     hidden_block_count_y
      - .offset:         3168
        .size:           4
        .value_kind:     hidden_block_count_z
      - .offset:         3172
        .size:           2
        .value_kind:     hidden_group_size_x
      - .offset:         3174
        .size:           2
        .value_kind:     hidden_group_size_y
      - .offset:         3176
        .size:           2
        .value_kind:     hidden_group_size_z
      - .offset:         3178
        .size:           2
        .value_kind:     hidden_remainder_x
      - .offset:         3180
        .size:           2
        .value_kind:     hidden_remainder_y
      - .offset:         3182
        .size:           2
        .value_kind:     hidden_remainder_z
      - .offset:         3200
        .size:           8
        .value_kind:     hidden_global_offset_x
      - .offset:         3208
        .size:           8
        .value_kind:     hidden_global_offset_y
      - .offset:         3216
        .size:           8
        .value_kind:     hidden_global_offset_z
      - .offset:         3224
        .size:           2
        .value_kind:     hidden_grid_dims
    .group_segment_fixed_size: 0
    .kernarg_segment_align: 8
    .kernarg_segment_size: 3416
    .language:       OpenCL C
    .language_version:
      - 2
      - 0
    .max_flat_workgroup_size: 512
    .name:           _ZN2at6native12_GLOBAL__N_125multi_tensor_apply_kernelINS1_18TensorListMetadataILi3EEENS1_22TernaryOpScalarFunctorIN3c107complexIfEELi3ELi2ELi2EEEJNS0_11LerpFunctorIS8_EES8_EEEvT_T0_DpT1_
    .private_segment_fixed_size: 0
    .sgpr_count:     36
    .sgpr_spill_count: 0
    .symbol:         _ZN2at6native12_GLOBAL__N_125multi_tensor_apply_kernelINS1_18TensorListMetadataILi3EEENS1_22TernaryOpScalarFunctorIN3c107complexIfEELi3ELi2ELi2EEEJNS0_11LerpFunctorIS8_EES8_EEEvT_T0_DpT1_.kd
    .uniform_work_group_size: 1
    .uses_dynamic_stack: false
    .vgpr_count:     31
    .vgpr_spill_count: 0
    .wavefront_size: 64
  - .args:
      - .offset:         0
        .size:           3144
        .value_kind:     by_value
      - .offset:         3144
        .size:           1
        .value_kind:     by_value
      - .offset:         3145
        .size:           1
        .value_kind:     by_value
      - .offset:         3148
        .size:           4
        .value_kind:     by_value
      - .offset:         3152
        .size:           4
        .value_kind:     hidden_block_count_x
      - .offset:         3156
        .size:           4
        .value_kind:     hidden_block_count_y
      - .offset:         3160
        .size:           4
        .value_kind:     hidden_block_count_z
      - .offset:         3164
        .size:           2
        .value_kind:     hidden_group_size_x
      - .offset:         3166
        .size:           2
        .value_kind:     hidden_group_size_y
      - .offset:         3168
        .size:           2
        .value_kind:     hidden_group_size_z
      - .offset:         3170
        .size:           2
        .value_kind:     hidden_remainder_x
      - .offset:         3172
        .size:           2
        .value_kind:     hidden_remainder_y
      - .offset:         3174
        .size:           2
        .value_kind:     hidden_remainder_z
      - .offset:         3192
        .size:           8
        .value_kind:     hidden_global_offset_x
      - .offset:         3200
        .size:           8
        .value_kind:     hidden_global_offset_y
      - .offset:         3208
        .size:           8
        .value_kind:     hidden_global_offset_z
      - .offset:         3216
        .size:           2
        .value_kind:     hidden_grid_dims
    .group_segment_fixed_size: 0
    .kernarg_segment_align: 8
    .kernarg_segment_size: 3408
    .language:       OpenCL C
    .language_version:
      - 2
      - 0
    .max_flat_workgroup_size: 512
    .name:           _ZN2at6native12_GLOBAL__N_125multi_tensor_apply_kernelINS1_18TensorListMetadataILi3EEENS1_22TernaryOpScalarFunctorIN3c104HalfELi3ELi2ELi2EEEJNS0_11LerpFunctorIfEEfEEEvT_T0_DpT1_
    .private_segment_fixed_size: 0
    .sgpr_count:     35
    .sgpr_spill_count: 0
    .symbol:         _ZN2at6native12_GLOBAL__N_125multi_tensor_apply_kernelINS1_18TensorListMetadataILi3EEENS1_22TernaryOpScalarFunctorIN3c104HalfELi3ELi2ELi2EEEJNS0_11LerpFunctorIfEEfEEEvT_T0_DpT1_.kd
    .uniform_work_group_size: 1
    .uses_dynamic_stack: false
    .vgpr_count:     44
    .vgpr_spill_count: 0
    .wavefront_size: 64
  - .args:
      - .offset:         0
        .size:           3144
        .value_kind:     by_value
      - .offset:         3144
        .size:           1
        .value_kind:     by_value
      - .offset:         3145
        .size:           1
        .value_kind:     by_value
      - .offset:         3148
        .size:           4
        .value_kind:     by_value
      - .offset:         3152
        .size:           4
        .value_kind:     hidden_block_count_x
      - .offset:         3156
        .size:           4
        .value_kind:     hidden_block_count_y
      - .offset:         3160
        .size:           4
        .value_kind:     hidden_block_count_z
      - .offset:         3164
        .size:           2
        .value_kind:     hidden_group_size_x
      - .offset:         3166
        .size:           2
        .value_kind:     hidden_group_size_y
      - .offset:         3168
        .size:           2
        .value_kind:     hidden_group_size_z
      - .offset:         3170
        .size:           2
        .value_kind:     hidden_remainder_x
      - .offset:         3172
        .size:           2
        .value_kind:     hidden_remainder_y
      - .offset:         3174
        .size:           2
        .value_kind:     hidden_remainder_z
      - .offset:         3192
        .size:           8
        .value_kind:     hidden_global_offset_x
      - .offset:         3200
        .size:           8
        .value_kind:     hidden_global_offset_y
      - .offset:         3208
        .size:           8
        .value_kind:     hidden_global_offset_z
      - .offset:         3216
        .size:           2
        .value_kind:     hidden_grid_dims
    .group_segment_fixed_size: 0
    .kernarg_segment_align: 8
    .kernarg_segment_size: 3408
    .language:       OpenCL C
    .language_version:
      - 2
      - 0
    .max_flat_workgroup_size: 512
    .name:           _ZN2at6native12_GLOBAL__N_125multi_tensor_apply_kernelINS1_18TensorListMetadataILi3EEENS1_22TernaryOpScalarFunctorIN3c108BFloat16ELi3ELi2ELi2EEEJNS0_11LerpFunctorIfEEfEEEvT_T0_DpT1_
    .private_segment_fixed_size: 0
    .sgpr_count:     32
    .sgpr_spill_count: 0
    .symbol:         _ZN2at6native12_GLOBAL__N_125multi_tensor_apply_kernelINS1_18TensorListMetadataILi3EEENS1_22TernaryOpScalarFunctorIN3c108BFloat16ELi3ELi2ELi2EEEJNS0_11LerpFunctorIfEEfEEEvT_T0_DpT1_.kd
    .uniform_work_group_size: 1
    .uses_dynamic_stack: false
    .vgpr_count:     41
    .vgpr_spill_count: 0
    .wavefront_size: 64
  - .args:
      - .offset:         0
        .size:           3144
        .value_kind:     by_value
      - .offset:         3144
        .size:           1
        .value_kind:     by_value
      - .offset:         3145
        .size:           1
        .value_kind:     by_value
      - .offset:         3152
        .size:           8
        .value_kind:     by_value
      - .offset:         3160
        .size:           4
        .value_kind:     hidden_block_count_x
      - .offset:         3164
        .size:           4
        .value_kind:     hidden_block_count_y
      - .offset:         3168
        .size:           4
        .value_kind:     hidden_block_count_z
      - .offset:         3172
        .size:           2
        .value_kind:     hidden_group_size_x
      - .offset:         3174
        .size:           2
        .value_kind:     hidden_group_size_y
      - .offset:         3176
        .size:           2
        .value_kind:     hidden_group_size_z
      - .offset:         3178
        .size:           2
        .value_kind:     hidden_remainder_x
      - .offset:         3180
        .size:           2
        .value_kind:     hidden_remainder_y
      - .offset:         3182
        .size:           2
        .value_kind:     hidden_remainder_z
      - .offset:         3200
        .size:           8
        .value_kind:     hidden_global_offset_x
      - .offset:         3208
        .size:           8
        .value_kind:     hidden_global_offset_y
      - .offset:         3216
        .size:           8
        .value_kind:     hidden_global_offset_z
      - .offset:         3224
        .size:           2
        .value_kind:     hidden_grid_dims
    .group_segment_fixed_size: 0
    .kernarg_segment_align: 8
    .kernarg_segment_size: 3416
    .language:       OpenCL C
    .language_version:
      - 2
      - 0
    .max_flat_workgroup_size: 512
    .name:           _ZN2at6native12_GLOBAL__N_125multi_tensor_apply_kernelINS1_18TensorListMetadataILi2EEENS1_22TernaryOpScalarFunctorIdLi2ELi2ELi0EEEJNS0_11LerpFunctorIdEEdEEEvT_T0_DpT1_
    .private_segment_fixed_size: 0
    .sgpr_count:     28
    .sgpr_spill_count: 0
    .symbol:         _ZN2at6native12_GLOBAL__N_125multi_tensor_apply_kernelINS1_18TensorListMetadataILi2EEENS1_22TernaryOpScalarFunctorIdLi2ELi2ELi0EEEJNS0_11LerpFunctorIdEEdEEEvT_T0_DpT1_.kd
    .uniform_work_group_size: 1
    .uses_dynamic_stack: false
    .vgpr_count:     45
    .vgpr_spill_count: 0
    .wavefront_size: 64
  - .args:
      - .offset:         0
        .size:           3144
        .value_kind:     by_value
      - .offset:         3144
        .size:           1
        .value_kind:     by_value
      - .offset:         3145
        .size:           1
        .value_kind:     by_value
      - .offset:         3148
        .size:           4
        .value_kind:     by_value
      - .offset:         3152
        .size:           4
        .value_kind:     hidden_block_count_x
      - .offset:         3156
        .size:           4
        .value_kind:     hidden_block_count_y
      - .offset:         3160
        .size:           4
        .value_kind:     hidden_block_count_z
      - .offset:         3164
        .size:           2
        .value_kind:     hidden_group_size_x
      - .offset:         3166
        .size:           2
        .value_kind:     hidden_group_size_y
      - .offset:         3168
        .size:           2
        .value_kind:     hidden_group_size_z
      - .offset:         3170
        .size:           2
        .value_kind:     hidden_remainder_x
      - .offset:         3172
        .size:           2
        .value_kind:     hidden_remainder_y
      - .offset:         3174
        .size:           2
        .value_kind:     hidden_remainder_z
      - .offset:         3192
        .size:           8
        .value_kind:     hidden_global_offset_x
      - .offset:         3200
        .size:           8
        .value_kind:     hidden_global_offset_y
      - .offset:         3208
        .size:           8
        .value_kind:     hidden_global_offset_z
      - .offset:         3216
        .size:           2
        .value_kind:     hidden_grid_dims
    .group_segment_fixed_size: 0
    .kernarg_segment_align: 8
    .kernarg_segment_size: 3408
    .language:       OpenCL C
    .language_version:
      - 2
      - 0
    .max_flat_workgroup_size: 512
    .name:           _ZN2at6native12_GLOBAL__N_125multi_tensor_apply_kernelINS1_18TensorListMetadataILi2EEENS1_22TernaryOpScalarFunctorIfLi2ELi2ELi0EEEJNS0_11LerpFunctorIfEEfEEEvT_T0_DpT1_
    .private_segment_fixed_size: 0
    .sgpr_count:     27
    .sgpr_spill_count: 0
    .symbol:         _ZN2at6native12_GLOBAL__N_125multi_tensor_apply_kernelINS1_18TensorListMetadataILi2EEENS1_22TernaryOpScalarFunctorIfLi2ELi2ELi0EEEJNS0_11LerpFunctorIfEEfEEEvT_T0_DpT1_.kd
    .uniform_work_group_size: 1
    .uses_dynamic_stack: false
    .vgpr_count:     36
    .vgpr_spill_count: 0
    .wavefront_size: 64
  - .args:
      - .offset:         0
        .size:           3144
        .value_kind:     by_value
      - .offset:         3144
        .size:           1
        .value_kind:     by_value
      - .offset:         3145
        .size:           1
        .value_kind:     by_value
      - .offset:         3152
        .size:           16
        .value_kind:     by_value
      - .offset:         3168
        .size:           4
        .value_kind:     hidden_block_count_x
      - .offset:         3172
        .size:           4
        .value_kind:     hidden_block_count_y
      - .offset:         3176
        .size:           4
        .value_kind:     hidden_block_count_z
      - .offset:         3180
        .size:           2
        .value_kind:     hidden_group_size_x
      - .offset:         3182
        .size:           2
        .value_kind:     hidden_group_size_y
      - .offset:         3184
        .size:           2
        .value_kind:     hidden_group_size_z
      - .offset:         3186
        .size:           2
        .value_kind:     hidden_remainder_x
      - .offset:         3188
        .size:           2
        .value_kind:     hidden_remainder_y
      - .offset:         3190
        .size:           2
        .value_kind:     hidden_remainder_z
      - .offset:         3208
        .size:           8
        .value_kind:     hidden_global_offset_x
      - .offset:         3216
        .size:           8
        .value_kind:     hidden_global_offset_y
      - .offset:         3224
        .size:           8
        .value_kind:     hidden_global_offset_z
      - .offset:         3232
        .size:           2
        .value_kind:     hidden_grid_dims
    .group_segment_fixed_size: 0
    .kernarg_segment_align: 16
    .kernarg_segment_size: 3424
    .language:       OpenCL C
    .language_version:
      - 2
      - 0
    .max_flat_workgroup_size: 512
    .name:           _ZN2at6native12_GLOBAL__N_125multi_tensor_apply_kernelINS1_18TensorListMetadataILi2EEENS1_22TernaryOpScalarFunctorIN3c107complexIdEELi2ELi2ELi0EEEJNS0_11LerpFunctorIS8_EES8_EEEvT_T0_DpT1_
    .private_segment_fixed_size: 0
    .sgpr_count:     36
    .sgpr_spill_count: 0
    .symbol:         _ZN2at6native12_GLOBAL__N_125multi_tensor_apply_kernelINS1_18TensorListMetadataILi2EEENS1_22TernaryOpScalarFunctorIN3c107complexIdEELi2ELi2ELi0EEEJNS0_11LerpFunctorIS8_EES8_EEEvT_T0_DpT1_.kd
    .uniform_work_group_size: 1
    .uses_dynamic_stack: false
    .vgpr_count:     53
    .vgpr_spill_count: 0
    .wavefront_size: 64
  - .args:
      - .offset:         0
        .size:           3144
        .value_kind:     by_value
      - .offset:         3144
        .size:           1
        .value_kind:     by_value
      - .offset:         3145
        .size:           1
        .value_kind:     by_value
      - .offset:         3152
        .size:           8
        .value_kind:     by_value
      - .offset:         3160
        .size:           4
        .value_kind:     hidden_block_count_x
      - .offset:         3164
        .size:           4
        .value_kind:     hidden_block_count_y
      - .offset:         3168
        .size:           4
        .value_kind:     hidden_block_count_z
      - .offset:         3172
        .size:           2
        .value_kind:     hidden_group_size_x
      - .offset:         3174
        .size:           2
        .value_kind:     hidden_group_size_y
      - .offset:         3176
        .size:           2
        .value_kind:     hidden_group_size_z
      - .offset:         3178
        .size:           2
        .value_kind:     hidden_remainder_x
      - .offset:         3180
        .size:           2
        .value_kind:     hidden_remainder_y
      - .offset:         3182
        .size:           2
        .value_kind:     hidden_remainder_z
      - .offset:         3200
        .size:           8
        .value_kind:     hidden_global_offset_x
      - .offset:         3208
        .size:           8
        .value_kind:     hidden_global_offset_y
      - .offset:         3216
        .size:           8
        .value_kind:     hidden_global_offset_z
      - .offset:         3224
        .size:           2
        .value_kind:     hidden_grid_dims
    .group_segment_fixed_size: 0
    .kernarg_segment_align: 8
    .kernarg_segment_size: 3416
    .language:       OpenCL C
    .language_version:
      - 2
      - 0
    .max_flat_workgroup_size: 512
    .name:           _ZN2at6native12_GLOBAL__N_125multi_tensor_apply_kernelINS1_18TensorListMetadataILi2EEENS1_22TernaryOpScalarFunctorIN3c107complexIfEELi2ELi2ELi0EEEJNS0_11LerpFunctorIS8_EES8_EEEvT_T0_DpT1_
    .private_segment_fixed_size: 0
    .sgpr_count:     34
    .sgpr_spill_count: 0
    .symbol:         _ZN2at6native12_GLOBAL__N_125multi_tensor_apply_kernelINS1_18TensorListMetadataILi2EEENS1_22TernaryOpScalarFunctorIN3c107complexIfEELi2ELi2ELi0EEEJNS0_11LerpFunctorIS8_EES8_EEEvT_T0_DpT1_.kd
    .uniform_work_group_size: 1
    .uses_dynamic_stack: false
    .vgpr_count:     31
    .vgpr_spill_count: 0
    .wavefront_size: 64
  - .args:
      - .offset:         0
        .size:           3144
        .value_kind:     by_value
      - .offset:         3144
        .size:           1
        .value_kind:     by_value
      - .offset:         3145
        .size:           1
        .value_kind:     by_value
      - .offset:         3148
        .size:           4
        .value_kind:     by_value
      - .offset:         3152
        .size:           4
        .value_kind:     hidden_block_count_x
      - .offset:         3156
        .size:           4
        .value_kind:     hidden_block_count_y
      - .offset:         3160
        .size:           4
        .value_kind:     hidden_block_count_z
      - .offset:         3164
        .size:           2
        .value_kind:     hidden_group_size_x
      - .offset:         3166
        .size:           2
        .value_kind:     hidden_group_size_y
      - .offset:         3168
        .size:           2
        .value_kind:     hidden_group_size_z
      - .offset:         3170
        .size:           2
        .value_kind:     hidden_remainder_x
      - .offset:         3172
        .size:           2
        .value_kind:     hidden_remainder_y
      - .offset:         3174
        .size:           2
        .value_kind:     hidden_remainder_z
      - .offset:         3192
        .size:           8
        .value_kind:     hidden_global_offset_x
      - .offset:         3200
        .size:           8
        .value_kind:     hidden_global_offset_y
      - .offset:         3208
        .size:           8
        .value_kind:     hidden_global_offset_z
      - .offset:         3216
        .size:           2
        .value_kind:     hidden_grid_dims
    .group_segment_fixed_size: 0
    .kernarg_segment_align: 8
    .kernarg_segment_size: 3408
    .language:       OpenCL C
    .language_version:
      - 2
      - 0
    .max_flat_workgroup_size: 512
    .name:           _ZN2at6native12_GLOBAL__N_125multi_tensor_apply_kernelINS1_18TensorListMetadataILi2EEENS1_22TernaryOpScalarFunctorIN3c104HalfELi2ELi2ELi0EEEJNS0_11LerpFunctorIfEEfEEEvT_T0_DpT1_
    .private_segment_fixed_size: 0
    .sgpr_count:     27
    .sgpr_spill_count: 0
    .symbol:         _ZN2at6native12_GLOBAL__N_125multi_tensor_apply_kernelINS1_18TensorListMetadataILi2EEENS1_22TernaryOpScalarFunctorIN3c104HalfELi2ELi2ELi0EEEJNS0_11LerpFunctorIfEEfEEEvT_T0_DpT1_.kd
    .uniform_work_group_size: 1
    .uses_dynamic_stack: false
    .vgpr_count:     36
    .vgpr_spill_count: 0
    .wavefront_size: 64
  - .args:
      - .offset:         0
        .size:           3144
        .value_kind:     by_value
      - .offset:         3144
        .size:           1
        .value_kind:     by_value
      - .offset:         3145
        .size:           1
        .value_kind:     by_value
      - .offset:         3148
        .size:           4
        .value_kind:     by_value
      - .offset:         3152
        .size:           4
        .value_kind:     hidden_block_count_x
      - .offset:         3156
        .size:           4
        .value_kind:     hidden_block_count_y
      - .offset:         3160
        .size:           4
        .value_kind:     hidden_block_count_z
      - .offset:         3164
        .size:           2
        .value_kind:     hidden_group_size_x
      - .offset:         3166
        .size:           2
        .value_kind:     hidden_group_size_y
      - .offset:         3168
        .size:           2
        .value_kind:     hidden_group_size_z
      - .offset:         3170
        .size:           2
        .value_kind:     hidden_remainder_x
      - .offset:         3172
        .size:           2
        .value_kind:     hidden_remainder_y
      - .offset:         3174
        .size:           2
        .value_kind:     hidden_remainder_z
      - .offset:         3192
        .size:           8
        .value_kind:     hidden_global_offset_x
      - .offset:         3200
        .size:           8
        .value_kind:     hidden_global_offset_y
      - .offset:         3208
        .size:           8
        .value_kind:     hidden_global_offset_z
      - .offset:         3216
        .size:           2
        .value_kind:     hidden_grid_dims
    .group_segment_fixed_size: 0
    .kernarg_segment_align: 8
    .kernarg_segment_size: 3408
    .language:       OpenCL C
    .language_version:
      - 2
      - 0
    .max_flat_workgroup_size: 512
    .name:           _ZN2at6native12_GLOBAL__N_125multi_tensor_apply_kernelINS1_18TensorListMetadataILi2EEENS1_22TernaryOpScalarFunctorIN3c108BFloat16ELi2ELi2ELi0EEEJNS0_11LerpFunctorIfEEfEEEvT_T0_DpT1_
    .private_segment_fixed_size: 0
    .sgpr_count:     30
    .sgpr_spill_count: 0
    .symbol:         _ZN2at6native12_GLOBAL__N_125multi_tensor_apply_kernelINS1_18TensorListMetadataILi2EEENS1_22TernaryOpScalarFunctorIN3c108BFloat16ELi2ELi2ELi0EEEJNS0_11LerpFunctorIfEEfEEEvT_T0_DpT1_.kd
    .uniform_work_group_size: 1
    .uses_dynamic_stack: false
    .vgpr_count:     33
    .vgpr_spill_count: 0
    .wavefront_size: 64
  - .args:
      - .offset:         0
        .size:           3520
        .value_kind:     by_value
      - .offset:         3520
        .size:           1
        .value_kind:     by_value
      - .offset:         3521
        .size:           1
        .value_kind:     by_value
      - .offset:         3528
        .size:           4
        .value_kind:     hidden_block_count_x
      - .offset:         3532
        .size:           4
        .value_kind:     hidden_block_count_y
      - .offset:         3536
        .size:           4
        .value_kind:     hidden_block_count_z
      - .offset:         3540
        .size:           2
        .value_kind:     hidden_group_size_x
      - .offset:         3542
        .size:           2
        .value_kind:     hidden_group_size_y
      - .offset:         3544
        .size:           2
        .value_kind:     hidden_group_size_z
      - .offset:         3546
        .size:           2
        .value_kind:     hidden_remainder_x
      - .offset:         3548
        .size:           2
        .value_kind:     hidden_remainder_y
      - .offset:         3550
        .size:           2
        .value_kind:     hidden_remainder_z
      - .offset:         3568
        .size:           8
        .value_kind:     hidden_global_offset_x
      - .offset:         3576
        .size:           8
        .value_kind:     hidden_global_offset_y
      - .offset:         3584
        .size:           8
        .value_kind:     hidden_global_offset_z
      - .offset:         3592
        .size:           2
        .value_kind:     hidden_grid_dims
    .group_segment_fixed_size: 0
    .kernarg_segment_align: 8
    .kernarg_segment_size: 3784
    .language:       OpenCL C
    .language_version:
      - 2
      - 0
    .max_flat_workgroup_size: 512
    .name:           _ZN2at6native12_GLOBAL__N_125multi_tensor_apply_kernelINS1_28TensorListScalarListMetadataIdLi3EEENS1_26TernaryOpScalarListFunctorIdLi3ELi2ELi2EEEJNS0_11LerpFunctorIdEEEEEvT_T0_DpT1_
    .private_segment_fixed_size: 0
    .sgpr_count:     36
    .sgpr_spill_count: 0
    .symbol:         _ZN2at6native12_GLOBAL__N_125multi_tensor_apply_kernelINS1_28TensorListScalarListMetadataIdLi3EEENS1_26TernaryOpScalarListFunctorIdLi3ELi2ELi2EEEJNS0_11LerpFunctorIdEEEEEvT_T0_DpT1_.kd
    .uniform_work_group_size: 1
    .uses_dynamic_stack: false
    .vgpr_count:     53
    .vgpr_spill_count: 0
    .wavefront_size: 64
  - .args:
      - .offset:         0
        .size:           3328
        .value_kind:     by_value
      - .offset:         3328
        .size:           1
        .value_kind:     by_value
      - .offset:         3329
        .size:           1
        .value_kind:     by_value
      - .offset:         3336
        .size:           4
        .value_kind:     hidden_block_count_x
      - .offset:         3340
        .size:           4
        .value_kind:     hidden_block_count_y
      - .offset:         3344
        .size:           4
        .value_kind:     hidden_block_count_z
      - .offset:         3348
        .size:           2
        .value_kind:     hidden_group_size_x
      - .offset:         3350
        .size:           2
        .value_kind:     hidden_group_size_y
      - .offset:         3352
        .size:           2
        .value_kind:     hidden_group_size_z
      - .offset:         3354
        .size:           2
        .value_kind:     hidden_remainder_x
      - .offset:         3356
        .size:           2
        .value_kind:     hidden_remainder_y
      - .offset:         3358
        .size:           2
        .value_kind:     hidden_remainder_z
      - .offset:         3376
        .size:           8
        .value_kind:     hidden_global_offset_x
      - .offset:         3384
        .size:           8
        .value_kind:     hidden_global_offset_y
      - .offset:         3392
        .size:           8
        .value_kind:     hidden_global_offset_z
      - .offset:         3400
        .size:           2
        .value_kind:     hidden_grid_dims
    .group_segment_fixed_size: 0
    .kernarg_segment_align: 8
    .kernarg_segment_size: 3592
    .language:       OpenCL C
    .language_version:
      - 2
      - 0
    .max_flat_workgroup_size: 512
    .name:           _ZN2at6native12_GLOBAL__N_125multi_tensor_apply_kernelINS1_28TensorListScalarListMetadataIfLi3EEENS1_26TernaryOpScalarListFunctorIfLi3ELi2ELi2EEEJNS0_11LerpFunctorIfEEEEEvT_T0_DpT1_
    .private_segment_fixed_size: 0
    .sgpr_count:     35
    .sgpr_spill_count: 0
    .symbol:         _ZN2at6native12_GLOBAL__N_125multi_tensor_apply_kernelINS1_28TensorListScalarListMetadataIfLi3EEENS1_26TernaryOpScalarListFunctorIfLi3ELi2ELi2EEEJNS0_11LerpFunctorIfEEEEEvT_T0_DpT1_.kd
    .uniform_work_group_size: 1
    .uses_dynamic_stack: false
    .vgpr_count:     44
    .vgpr_spill_count: 0
    .wavefront_size: 64
  - .args:
      - .offset:         0
        .size:           3904
        .value_kind:     by_value
      - .offset:         3904
        .size:           1
        .value_kind:     by_value
      - .offset:         3905
        .size:           1
        .value_kind:     by_value
      - .offset:         3912
        .size:           4
        .value_kind:     hidden_block_count_x
      - .offset:         3916
        .size:           4
        .value_kind:     hidden_block_count_y
      - .offset:         3920
        .size:           4
        .value_kind:     hidden_block_count_z
      - .offset:         3924
        .size:           2
        .value_kind:     hidden_group_size_x
      - .offset:         3926
        .size:           2
        .value_kind:     hidden_group_size_y
      - .offset:         3928
        .size:           2
        .value_kind:     hidden_group_size_z
      - .offset:         3930
        .size:           2
        .value_kind:     hidden_remainder_x
      - .offset:         3932
        .size:           2
        .value_kind:     hidden_remainder_y
      - .offset:         3934
        .size:           2
        .value_kind:     hidden_remainder_z
      - .offset:         3952
        .size:           8
        .value_kind:     hidden_global_offset_x
      - .offset:         3960
        .size:           8
        .value_kind:     hidden_global_offset_y
      - .offset:         3968
        .size:           8
        .value_kind:     hidden_global_offset_z
      - .offset:         3976
        .size:           2
        .value_kind:     hidden_grid_dims
    .group_segment_fixed_size: 0
    .kernarg_segment_align: 16
    .kernarg_segment_size: 4168
    .language:       OpenCL C
    .language_version:
      - 2
      - 0
    .max_flat_workgroup_size: 512
    .name:           _ZN2at6native12_GLOBAL__N_125multi_tensor_apply_kernelINS1_28TensorListScalarListMetadataIN3c107complexIdEELi3EEENS1_26TernaryOpScalarListFunctorIS6_Li3ELi2ELi2EEEJNS0_11LerpFunctorIS6_EEEEEvT_T0_DpT1_
    .private_segment_fixed_size: 0
    .sgpr_count:     39
    .sgpr_spill_count: 0
    .symbol:         _ZN2at6native12_GLOBAL__N_125multi_tensor_apply_kernelINS1_28TensorListScalarListMetadataIN3c107complexIdEELi3EEENS1_26TernaryOpScalarListFunctorIS6_Li3ELi2ELi2EEEJNS0_11LerpFunctorIS6_EEEEEvT_T0_DpT1_.kd
    .uniform_work_group_size: 1
    .uses_dynamic_stack: false
    .vgpr_count:     53
    .vgpr_spill_count: 0
    .wavefront_size: 64
  - .args:
      - .offset:         0
        .size:           3520
        .value_kind:     by_value
      - .offset:         3520
        .size:           1
        .value_kind:     by_value
      - .offset:         3521
        .size:           1
        .value_kind:     by_value
      - .offset:         3528
        .size:           4
        .value_kind:     hidden_block_count_x
      - .offset:         3532
        .size:           4
        .value_kind:     hidden_block_count_y
      - .offset:         3536
        .size:           4
        .value_kind:     hidden_block_count_z
      - .offset:         3540
        .size:           2
        .value_kind:     hidden_group_size_x
      - .offset:         3542
        .size:           2
        .value_kind:     hidden_group_size_y
      - .offset:         3544
        .size:           2
        .value_kind:     hidden_group_size_z
      - .offset:         3546
        .size:           2
        .value_kind:     hidden_remainder_x
      - .offset:         3548
        .size:           2
        .value_kind:     hidden_remainder_y
      - .offset:         3550
        .size:           2
        .value_kind:     hidden_remainder_z
      - .offset:         3568
        .size:           8
        .value_kind:     hidden_global_offset_x
      - .offset:         3576
        .size:           8
        .value_kind:     hidden_global_offset_y
      - .offset:         3584
        .size:           8
        .value_kind:     hidden_global_offset_z
      - .offset:         3592
        .size:           2
        .value_kind:     hidden_grid_dims
    .group_segment_fixed_size: 0
    .kernarg_segment_align: 8
    .kernarg_segment_size: 3784
    .language:       OpenCL C
    .language_version:
      - 2
      - 0
    .max_flat_workgroup_size: 512
    .name:           _ZN2at6native12_GLOBAL__N_125multi_tensor_apply_kernelINS1_28TensorListScalarListMetadataIN3c107complexIfEELi3EEENS1_26TernaryOpScalarListFunctorIS6_Li3ELi2ELi2EEEJNS0_11LerpFunctorIS6_EEEEEvT_T0_DpT1_
    .private_segment_fixed_size: 0
    .sgpr_count:     36
    .sgpr_spill_count: 0
    .symbol:         _ZN2at6native12_GLOBAL__N_125multi_tensor_apply_kernelINS1_28TensorListScalarListMetadataIN3c107complexIfEELi3EEENS1_26TernaryOpScalarListFunctorIS6_Li3ELi2ELi2EEEJNS0_11LerpFunctorIS6_EEEEEvT_T0_DpT1_.kd
    .uniform_work_group_size: 1
    .uses_dynamic_stack: false
    .vgpr_count:     31
    .vgpr_spill_count: 0
    .wavefront_size: 64
  - .args:
      - .offset:         0
        .size:           3328
        .value_kind:     by_value
      - .offset:         3328
        .size:           1
        .value_kind:     by_value
      - .offset:         3329
        .size:           1
        .value_kind:     by_value
      - .offset:         3336
        .size:           4
        .value_kind:     hidden_block_count_x
      - .offset:         3340
        .size:           4
        .value_kind:     hidden_block_count_y
      - .offset:         3344
        .size:           4
        .value_kind:     hidden_block_count_z
      - .offset:         3348
        .size:           2
        .value_kind:     hidden_group_size_x
      - .offset:         3350
        .size:           2
        .value_kind:     hidden_group_size_y
      - .offset:         3352
        .size:           2
        .value_kind:     hidden_group_size_z
      - .offset:         3354
        .size:           2
        .value_kind:     hidden_remainder_x
      - .offset:         3356
        .size:           2
        .value_kind:     hidden_remainder_y
      - .offset:         3358
        .size:           2
        .value_kind:     hidden_remainder_z
      - .offset:         3376
        .size:           8
        .value_kind:     hidden_global_offset_x
      - .offset:         3384
        .size:           8
        .value_kind:     hidden_global_offset_y
      - .offset:         3392
        .size:           8
        .value_kind:     hidden_global_offset_z
      - .offset:         3400
        .size:           2
        .value_kind:     hidden_grid_dims
    .group_segment_fixed_size: 0
    .kernarg_segment_align: 8
    .kernarg_segment_size: 3592
    .language:       OpenCL C
    .language_version:
      - 2
      - 0
    .max_flat_workgroup_size: 512
    .name:           _ZN2at6native12_GLOBAL__N_125multi_tensor_apply_kernelINS1_28TensorListScalarListMetadataIfLi3EEENS1_26TernaryOpScalarListFunctorIN3c104HalfELi3ELi2ELi2EEEJNS0_11LerpFunctorIfEEEEEvT_T0_DpT1_
    .private_segment_fixed_size: 0
    .sgpr_count:     35
    .sgpr_spill_count: 0
    .symbol:         _ZN2at6native12_GLOBAL__N_125multi_tensor_apply_kernelINS1_28TensorListScalarListMetadataIfLi3EEENS1_26TernaryOpScalarListFunctorIN3c104HalfELi3ELi2ELi2EEEJNS0_11LerpFunctorIfEEEEEvT_T0_DpT1_.kd
    .uniform_work_group_size: 1
    .uses_dynamic_stack: false
    .vgpr_count:     44
    .vgpr_spill_count: 0
    .wavefront_size: 64
  - .args:
      - .offset:         0
        .size:           3328
        .value_kind:     by_value
      - .offset:         3328
        .size:           1
        .value_kind:     by_value
      - .offset:         3329
        .size:           1
        .value_kind:     by_value
      - .offset:         3336
        .size:           4
        .value_kind:     hidden_block_count_x
      - .offset:         3340
        .size:           4
        .value_kind:     hidden_block_count_y
      - .offset:         3344
        .size:           4
        .value_kind:     hidden_block_count_z
      - .offset:         3348
        .size:           2
        .value_kind:     hidden_group_size_x
      - .offset:         3350
        .size:           2
        .value_kind:     hidden_group_size_y
      - .offset:         3352
        .size:           2
        .value_kind:     hidden_group_size_z
      - .offset:         3354
        .size:           2
        .value_kind:     hidden_remainder_x
      - .offset:         3356
        .size:           2
        .value_kind:     hidden_remainder_y
      - .offset:         3358
        .size:           2
        .value_kind:     hidden_remainder_z
      - .offset:         3376
        .size:           8
        .value_kind:     hidden_global_offset_x
      - .offset:         3384
        .size:           8
        .value_kind:     hidden_global_offset_y
      - .offset:         3392
        .size:           8
        .value_kind:     hidden_global_offset_z
      - .offset:         3400
        .size:           2
        .value_kind:     hidden_grid_dims
    .group_segment_fixed_size: 0
    .kernarg_segment_align: 8
    .kernarg_segment_size: 3592
    .language:       OpenCL C
    .language_version:
      - 2
      - 0
    .max_flat_workgroup_size: 512
    .name:           _ZN2at6native12_GLOBAL__N_125multi_tensor_apply_kernelINS1_28TensorListScalarListMetadataIfLi3EEENS1_26TernaryOpScalarListFunctorIN3c108BFloat16ELi3ELi2ELi2EEEJNS0_11LerpFunctorIfEEEEEvT_T0_DpT1_
    .private_segment_fixed_size: 0
    .sgpr_count:     32
    .sgpr_spill_count: 0
    .symbol:         _ZN2at6native12_GLOBAL__N_125multi_tensor_apply_kernelINS1_28TensorListScalarListMetadataIfLi3EEENS1_26TernaryOpScalarListFunctorIN3c108BFloat16ELi3ELi2ELi2EEEJNS0_11LerpFunctorIfEEEEEvT_T0_DpT1_.kd
    .uniform_work_group_size: 1
    .uses_dynamic_stack: false
    .vgpr_count:     41
    .vgpr_spill_count: 0
    .wavefront_size: 64
  - .args:
      - .offset:         0
        .size:           3648
        .value_kind:     by_value
      - .offset:         3648
        .size:           1
        .value_kind:     by_value
      - .offset:         3649
        .size:           1
        .value_kind:     by_value
      - .offset:         3656
        .size:           4
        .value_kind:     hidden_block_count_x
      - .offset:         3660
        .size:           4
        .value_kind:     hidden_block_count_y
      - .offset:         3664
        .size:           4
        .value_kind:     hidden_block_count_z
      - .offset:         3668
        .size:           2
        .value_kind:     hidden_group_size_x
      - .offset:         3670
        .size:           2
        .value_kind:     hidden_group_size_y
      - .offset:         3672
        .size:           2
        .value_kind:     hidden_group_size_z
      - .offset:         3674
        .size:           2
        .value_kind:     hidden_remainder_x
      - .offset:         3676
        .size:           2
        .value_kind:     hidden_remainder_y
      - .offset:         3678
        .size:           2
        .value_kind:     hidden_remainder_z
      - .offset:         3696
        .size:           8
        .value_kind:     hidden_global_offset_x
      - .offset:         3704
        .size:           8
        .value_kind:     hidden_global_offset_y
      - .offset:         3712
        .size:           8
        .value_kind:     hidden_global_offset_z
      - .offset:         3720
        .size:           2
        .value_kind:     hidden_grid_dims
    .group_segment_fixed_size: 0
    .kernarg_segment_align: 8
    .kernarg_segment_size: 3912
    .language:       OpenCL C
    .language_version:
      - 2
      - 0
    .max_flat_workgroup_size: 512
    .name:           _ZN2at6native12_GLOBAL__N_125multi_tensor_apply_kernelINS1_28TensorListScalarListMetadataIdLi2EEENS1_26TernaryOpScalarListFunctorIdLi2ELi2ELi0EEEJNS0_11LerpFunctorIdEEEEEvT_T0_DpT1_
    .private_segment_fixed_size: 0
    .sgpr_count:     28
    .sgpr_spill_count: 0
    .symbol:         _ZN2at6native12_GLOBAL__N_125multi_tensor_apply_kernelINS1_28TensorListScalarListMetadataIdLi2EEENS1_26TernaryOpScalarListFunctorIdLi2ELi2ELi0EEEJNS0_11LerpFunctorIdEEEEEvT_T0_DpT1_.kd
    .uniform_work_group_size: 1
    .uses_dynamic_stack: false
    .vgpr_count:     45
    .vgpr_spill_count: 0
    .wavefront_size: 64
  - .args:
      - .offset:         0
        .size:           3392
        .value_kind:     by_value
      - .offset:         3392
        .size:           1
        .value_kind:     by_value
      - .offset:         3393
        .size:           1
        .value_kind:     by_value
      - .offset:         3400
        .size:           4
        .value_kind:     hidden_block_count_x
      - .offset:         3404
        .size:           4
        .value_kind:     hidden_block_count_y
      - .offset:         3408
        .size:           4
        .value_kind:     hidden_block_count_z
      - .offset:         3412
        .size:           2
        .value_kind:     hidden_group_size_x
      - .offset:         3414
        .size:           2
        .value_kind:     hidden_group_size_y
      - .offset:         3416
        .size:           2
        .value_kind:     hidden_group_size_z
      - .offset:         3418
        .size:           2
        .value_kind:     hidden_remainder_x
      - .offset:         3420
        .size:           2
        .value_kind:     hidden_remainder_y
      - .offset:         3422
        .size:           2
        .value_kind:     hidden_remainder_z
      - .offset:         3440
        .size:           8
        .value_kind:     hidden_global_offset_x
      - .offset:         3448
        .size:           8
        .value_kind:     hidden_global_offset_y
      - .offset:         3456
        .size:           8
        .value_kind:     hidden_global_offset_z
      - .offset:         3464
        .size:           2
        .value_kind:     hidden_grid_dims
    .group_segment_fixed_size: 0
    .kernarg_segment_align: 8
    .kernarg_segment_size: 3656
    .language:       OpenCL C
    .language_version:
      - 2
      - 0
    .max_flat_workgroup_size: 512
    .name:           _ZN2at6native12_GLOBAL__N_125multi_tensor_apply_kernelINS1_28TensorListScalarListMetadataIfLi2EEENS1_26TernaryOpScalarListFunctorIfLi2ELi2ELi0EEEJNS0_11LerpFunctorIfEEEEEvT_T0_DpT1_
    .private_segment_fixed_size: 0
    .sgpr_count:     27
    .sgpr_spill_count: 0
    .symbol:         _ZN2at6native12_GLOBAL__N_125multi_tensor_apply_kernelINS1_28TensorListScalarListMetadataIfLi2EEENS1_26TernaryOpScalarListFunctorIfLi2ELi2ELi0EEEJNS0_11LerpFunctorIfEEEEEvT_T0_DpT1_.kd
    .uniform_work_group_size: 1
    .uses_dynamic_stack: false
    .vgpr_count:     36
    .vgpr_spill_count: 0
    .wavefront_size: 64
  - .args:
      - .offset:         0
        .size:           4000
        .value_kind:     by_value
      - .offset:         4000
        .size:           1
        .value_kind:     by_value
      - .offset:         4001
        .size:           1
        .value_kind:     by_value
      - .offset:         4008
        .size:           4
        .value_kind:     hidden_block_count_x
      - .offset:         4012
        .size:           4
        .value_kind:     hidden_block_count_y
      - .offset:         4016
        .size:           4
        .value_kind:     hidden_block_count_z
      - .offset:         4020
        .size:           2
        .value_kind:     hidden_group_size_x
      - .offset:         4022
        .size:           2
        .value_kind:     hidden_group_size_y
      - .offset:         4024
        .size:           2
        .value_kind:     hidden_group_size_z
      - .offset:         4026
        .size:           2
        .value_kind:     hidden_remainder_x
      - .offset:         4028
        .size:           2
        .value_kind:     hidden_remainder_y
      - .offset:         4030
        .size:           2
        .value_kind:     hidden_remainder_z
      - .offset:         4048
        .size:           8
        .value_kind:     hidden_global_offset_x
      - .offset:         4056
        .size:           8
        .value_kind:     hidden_global_offset_y
      - .offset:         4064
        .size:           8
        .value_kind:     hidden_global_offset_z
      - .offset:         4072
        .size:           2
        .value_kind:     hidden_grid_dims
    .group_segment_fixed_size: 0
    .kernarg_segment_align: 16
    .kernarg_segment_size: 4264
    .language:       OpenCL C
    .language_version:
      - 2
      - 0
    .max_flat_workgroup_size: 512
    .name:           _ZN2at6native12_GLOBAL__N_125multi_tensor_apply_kernelINS1_28TensorListScalarListMetadataIN3c107complexIdEELi2EEENS1_26TernaryOpScalarListFunctorIS6_Li2ELi2ELi0EEEJNS0_11LerpFunctorIS6_EEEEEvT_T0_DpT1_
    .private_segment_fixed_size: 0
    .sgpr_count:     36
    .sgpr_spill_count: 0
    .symbol:         _ZN2at6native12_GLOBAL__N_125multi_tensor_apply_kernelINS1_28TensorListScalarListMetadataIN3c107complexIdEELi2EEENS1_26TernaryOpScalarListFunctorIS6_Li2ELi2ELi0EEEJNS0_11LerpFunctorIS6_EEEEEvT_T0_DpT1_.kd
    .uniform_work_group_size: 1
    .uses_dynamic_stack: false
    .vgpr_count:     53
    .vgpr_spill_count: 0
    .wavefront_size: 64
  - .args:
      - .offset:         0
        .size:           3648
        .value_kind:     by_value
      - .offset:         3648
        .size:           1
        .value_kind:     by_value
      - .offset:         3649
        .size:           1
        .value_kind:     by_value
      - .offset:         3656
        .size:           4
        .value_kind:     hidden_block_count_x
      - .offset:         3660
        .size:           4
        .value_kind:     hidden_block_count_y
      - .offset:         3664
        .size:           4
        .value_kind:     hidden_block_count_z
      - .offset:         3668
        .size:           2
        .value_kind:     hidden_group_size_x
      - .offset:         3670
        .size:           2
        .value_kind:     hidden_group_size_y
      - .offset:         3672
        .size:           2
        .value_kind:     hidden_group_size_z
      - .offset:         3674
        .size:           2
        .value_kind:     hidden_remainder_x
      - .offset:         3676
        .size:           2
        .value_kind:     hidden_remainder_y
      - .offset:         3678
        .size:           2
        .value_kind:     hidden_remainder_z
      - .offset:         3696
        .size:           8
        .value_kind:     hidden_global_offset_x
      - .offset:         3704
        .size:           8
        .value_kind:     hidden_global_offset_y
      - .offset:         3712
        .size:           8
        .value_kind:     hidden_global_offset_z
      - .offset:         3720
        .size:           2
        .value_kind:     hidden_grid_dims
    .group_segment_fixed_size: 0
    .kernarg_segment_align: 8
    .kernarg_segment_size: 3912
    .language:       OpenCL C
    .language_version:
      - 2
      - 0
    .max_flat_workgroup_size: 512
    .name:           _ZN2at6native12_GLOBAL__N_125multi_tensor_apply_kernelINS1_28TensorListScalarListMetadataIN3c107complexIfEELi2EEENS1_26TernaryOpScalarListFunctorIS6_Li2ELi2ELi0EEEJNS0_11LerpFunctorIS6_EEEEEvT_T0_DpT1_
    .private_segment_fixed_size: 0
    .sgpr_count:     34
    .sgpr_spill_count: 0
    .symbol:         _ZN2at6native12_GLOBAL__N_125multi_tensor_apply_kernelINS1_28TensorListScalarListMetadataIN3c107complexIfEELi2EEENS1_26TernaryOpScalarListFunctorIS6_Li2ELi2ELi0EEEJNS0_11LerpFunctorIS6_EEEEEvT_T0_DpT1_.kd
    .uniform_work_group_size: 1
    .uses_dynamic_stack: false
    .vgpr_count:     31
    .vgpr_spill_count: 0
    .wavefront_size: 64
  - .args:
      - .offset:         0
        .size:           3392
        .value_kind:     by_value
      - .offset:         3392
        .size:           1
        .value_kind:     by_value
      - .offset:         3393
        .size:           1
        .value_kind:     by_value
      - .offset:         3400
        .size:           4
        .value_kind:     hidden_block_count_x
      - .offset:         3404
        .size:           4
        .value_kind:     hidden_block_count_y
      - .offset:         3408
        .size:           4
        .value_kind:     hidden_block_count_z
      - .offset:         3412
        .size:           2
        .value_kind:     hidden_group_size_x
      - .offset:         3414
        .size:           2
        .value_kind:     hidden_group_size_y
      - .offset:         3416
        .size:           2
        .value_kind:     hidden_group_size_z
      - .offset:         3418
        .size:           2
        .value_kind:     hidden_remainder_x
      - .offset:         3420
        .size:           2
        .value_kind:     hidden_remainder_y
      - .offset:         3422
        .size:           2
        .value_kind:     hidden_remainder_z
      - .offset:         3440
        .size:           8
        .value_kind:     hidden_global_offset_x
      - .offset:         3448
        .size:           8
        .value_kind:     hidden_global_offset_y
      - .offset:         3456
        .size:           8
        .value_kind:     hidden_global_offset_z
      - .offset:         3464
        .size:           2
        .value_kind:     hidden_grid_dims
    .group_segment_fixed_size: 0
    .kernarg_segment_align: 8
    .kernarg_segment_size: 3656
    .language:       OpenCL C
    .language_version:
      - 2
      - 0
    .max_flat_workgroup_size: 512
    .name:           _ZN2at6native12_GLOBAL__N_125multi_tensor_apply_kernelINS1_28TensorListScalarListMetadataIfLi2EEENS1_26TernaryOpScalarListFunctorIN3c104HalfELi2ELi2ELi0EEEJNS0_11LerpFunctorIfEEEEEvT_T0_DpT1_
    .private_segment_fixed_size: 0
    .sgpr_count:     27
    .sgpr_spill_count: 0
    .symbol:         _ZN2at6native12_GLOBAL__N_125multi_tensor_apply_kernelINS1_28TensorListScalarListMetadataIfLi2EEENS1_26TernaryOpScalarListFunctorIN3c104HalfELi2ELi2ELi0EEEJNS0_11LerpFunctorIfEEEEEvT_T0_DpT1_.kd
    .uniform_work_group_size: 1
    .uses_dynamic_stack: false
    .vgpr_count:     36
    .vgpr_spill_count: 0
    .wavefront_size: 64
  - .args:
      - .offset:         0
        .size:           3392
        .value_kind:     by_value
      - .offset:         3392
        .size:           1
        .value_kind:     by_value
      - .offset:         3393
        .size:           1
        .value_kind:     by_value
      - .offset:         3400
        .size:           4
        .value_kind:     hidden_block_count_x
      - .offset:         3404
        .size:           4
        .value_kind:     hidden_block_count_y
      - .offset:         3408
        .size:           4
        .value_kind:     hidden_block_count_z
      - .offset:         3412
        .size:           2
        .value_kind:     hidden_group_size_x
      - .offset:         3414
        .size:           2
        .value_kind:     hidden_group_size_y
      - .offset:         3416
        .size:           2
        .value_kind:     hidden_group_size_z
      - .offset:         3418
        .size:           2
        .value_kind:     hidden_remainder_x
      - .offset:         3420
        .size:           2
        .value_kind:     hidden_remainder_y
      - .offset:         3422
        .size:           2
        .value_kind:     hidden_remainder_z
      - .offset:         3440
        .size:           8
        .value_kind:     hidden_global_offset_x
      - .offset:         3448
        .size:           8
        .value_kind:     hidden_global_offset_y
      - .offset:         3456
        .size:           8
        .value_kind:     hidden_global_offset_z
      - .offset:         3464
        .size:           2
        .value_kind:     hidden_grid_dims
    .group_segment_fixed_size: 0
    .kernarg_segment_align: 8
    .kernarg_segment_size: 3656
    .language:       OpenCL C
    .language_version:
      - 2
      - 0
    .max_flat_workgroup_size: 512
    .name:           _ZN2at6native12_GLOBAL__N_125multi_tensor_apply_kernelINS1_28TensorListScalarListMetadataIfLi2EEENS1_26TernaryOpScalarListFunctorIN3c108BFloat16ELi2ELi2ELi0EEEJNS0_11LerpFunctorIfEEEEEvT_T0_DpT1_
    .private_segment_fixed_size: 0
    .sgpr_count:     30
    .sgpr_spill_count: 0
    .symbol:         _ZN2at6native12_GLOBAL__N_125multi_tensor_apply_kernelINS1_28TensorListScalarListMetadataIfLi2EEENS1_26TernaryOpScalarListFunctorIN3c108BFloat16ELi2ELi2ELi0EEEJNS0_11LerpFunctorIfEEEEEvT_T0_DpT1_.kd
    .uniform_work_group_size: 1
    .uses_dynamic_stack: false
    .vgpr_count:     33
    .vgpr_spill_count: 0
    .wavefront_size: 64
amdhsa.target:   amdgcn-amd-amdhsa--gfx906
amdhsa.version:
  - 1
  - 2
...

	.end_amdgpu_metadata
